;; amdgpu-corpus repo=zjin-lcf/HeCBench kind=compiled arch=gfx1201 opt=O3
	.amdgcn_target "amdgcn-amd-amdhsa--gfx1201"
	.amdhsa_code_object_version 6
	.text
	.protected	_Z8loss_bwdI6__halfS0_EvPKT_PKT0_S6_PKlS3_S8_PS4_ ; -- Begin function _Z8loss_bwdI6__halfS0_EvPKT_PKT0_S6_PKlS3_S8_PS4_
	.globl	_Z8loss_bwdI6__halfS0_EvPKT_PKT0_S6_PKlS3_S8_PS4_
	.p2align	8
	.type	_Z8loss_bwdI6__halfS0_EvPKT_PKT0_S6_PKlS3_S8_PS4_,@function
_Z8loss_bwdI6__halfS0_EvPKT_PKT0_S6_PKlS3_S8_PS4_: ; @_Z8loss_bwdI6__halfS0_EvPKT_PKT0_S6_PKlS3_S8_PS4_
; %bb.0:
	v_lshl_add_u32 v0, ttmp9, 6, v0
	s_mov_b32 s2, exec_lo
	s_delay_alu instid0(VALU_DEP_1)
	v_cmpx_gt_i32_e32 0x221c, v0
	s_cbranch_execz .LBB0_4
; %bb.1:
	s_load_b256 s[4:11], s[0:1], 0x18
	v_mad_co_u64_u32 v[2:3], null, 0x221c, ttmp7, v[0:1]
	s_load_b128 s[12:15], s[0:1], 0x0
	s_mov_b32 s2, exec_lo
	v_ashrrev_i32_e32 v3, 31, v2
	s_delay_alu instid0(VALU_DEP_1) | instskip(SKIP_2) | instid1(VALU_DEP_2)
	v_lshlrev_b64_e32 v[0:1], 3, v[2:3]
	v_lshlrev_b64_e32 v[7:8], 1, v[2:3]
	s_wait_kmcnt 0x0
	v_add_co_u32 v3, vcc_lo, s8, v0
	s_delay_alu instid0(VALU_DEP_1)
	v_add_co_ci_u32_e64 v4, null, s9, v1, vcc_lo
	v_add_co_u32 v0, vcc_lo, s4, v0
	s_wait_alu 0xfffd
	v_add_co_ci_u32_e64 v1, null, s5, v1, vcc_lo
	v_add_co_u32 v5, vcc_lo, s14, v7
	s_wait_alu 0xfffd
	v_add_co_ci_u32_e64 v6, null, s15, v8, vcc_lo
	global_load_b64 v[3:4], v[3:4], off
	global_load_b64 v[0:1], v[0:1], off
	global_load_u16 v26, v[5:6], off
	s_wait_loadcnt 0x2
	v_cmpx_ne_u64_e32 0, v[3:4]
	s_cbranch_execz .LBB0_3
; %bb.2:
	s_load_b64 s[0:1], s[0:1], 0x10
	s_wait_kmcnt 0x0
	v_add_co_u32 v3, vcc_lo, s0, v7
	s_wait_alu 0xfffd
	v_add_co_ci_u32_e64 v4, null, s1, v8, vcc_lo
	s_wait_loadcnt 0x1
	global_load_u16 v1, v[3:4], off
	s_wait_loadcnt 0x0
	v_add_f16_e32 v26, v26, v1
.LBB0_3:
	s_or_b32 exec_lo, exec_lo, s2
	s_wait_loadcnt 0x1
	v_mad_co_u64_u32 v[1:2], null, 0xaa8c0, ttmp7, v[2:3]
	v_add_co_u32 v7, vcc_lo, s6, v7
	s_wait_alu 0xfffd
	v_add_co_ci_u32_e64 v8, null, s7, v8, vcc_lo
	s_delay_alu instid0(VALU_DEP_3) | instskip(SKIP_1) | instid1(VALU_DEP_1)
	v_mad_co_u64_u32 v[3:4], null, 0x221c, v0, v[1:2]
	v_ashrrev_i32_e32 v2, 31, v1
	v_lshlrev_b64_e32 v[5:6], 1, v[1:2]
	s_delay_alu instid0(VALU_DEP_3) | instskip(NEXT) | instid1(VALU_DEP_2)
	v_ashrrev_i32_e32 v4, 31, v3
	v_add_co_u32 v1, vcc_lo, s12, v5
	s_wait_alu 0xfffd
	s_delay_alu instid0(VALU_DEP_3) | instskip(NEXT) | instid1(VALU_DEP_3)
	v_add_co_ci_u32_e64 v2, null, s13, v6, vcc_lo
	v_lshlrev_b64_e32 v[3:4], 1, v[3:4]
	global_load_u16 v7, v[7:8], off
	s_clause 0x17
	global_load_u16 v36, v[1:2], off offset:122248
	global_load_u16 v37, v[1:2], off offset:139712
	;; [unrolled: 1-line block ×24, first 2 shown]
	v_add_co_u32 v3, vcc_lo, s12, v3
	s_wait_alu 0xfffd
	v_add_co_ci_u32_e64 v4, null, s13, v4, vcc_lo
	s_clause 0x1f
	global_load_u16 v60, v[3:4], off
	global_load_u16 v61, v[1:2], off
	global_load_u16 v62, v[1:2], off offset:17464
	global_load_u16 v63, v[1:2], off offset:34928
	global_load_u16 v64, v[1:2], off offset:52392
	global_load_u16 v65, v[1:2], off offset:69856
	global_load_u16 v66, v[1:2], off offset:87320
	global_load_u16 v67, v[1:2], off offset:104784
	global_load_u16 v35, v[1:2], off offset:541384
	global_load_u16 v34, v[1:2], off offset:558848
	global_load_u16 v33, v[1:2], off offset:576312
	global_load_u16 v32, v[1:2], off offset:593776
	global_load_u16 v31, v[1:2], off offset:611240
	global_load_u16 v30, v[1:2], off offset:628704
	global_load_u16 v28, v[1:2], off offset:646168
	global_load_u16 v29, v[1:2], off offset:663632
	global_load_u16 v27, v[1:2], off offset:681096
	global_load_u16 v25, v[1:2], off offset:698560
	global_load_u16 v23, v[1:2], off offset:716024
	global_load_u16 v24, v[1:2], off offset:733488
	global_load_u16 v22, v[1:2], off offset:750952
	global_load_u16 v21, v[1:2], off offset:768416
	global_load_u16 v18, v[1:2], off offset:785880
	global_load_u16 v19, v[1:2], off offset:803344
	global_load_u16 v20, v[1:2], off offset:820808
	global_load_u16 v17, v[1:2], off offset:838272
	global_load_u16 v16, v[1:2], off offset:855736
	global_load_u16 v8, v[1:2], off offset:873200
	global_load_u16 v12, v[1:2], off offset:890664
	global_load_u16 v9, v[1:2], off offset:908128
	global_load_u16 v10, v[1:2], off offset:925592
	global_load_u16 v11, v[1:2], off offset:943056
	s_clause 0x2
	global_load_u16 v15, v[1:2], off offset:960520
	global_load_u16 v13, v[1:2], off offset:977984
	;; [unrolled: 1-line block ×3, first 2 shown]
	v_add_co_u32 v3, vcc_lo, s10, v5
	s_wait_alu 0xfffd
	v_add_co_ci_u32_e64 v4, null, s11, v6, vcc_lo
	v_cmp_eq_u32_e32 vcc_lo, 7, v0
	s_wait_loadcnt 0x3b
	v_mul_f16_e64 v5, v7, -v26
	s_wait_loadcnt 0x3a
	v_cvt_f32_f16_e32 v6, v36
	s_wait_loadcnt 0x39
	v_cvt_f32_f16_e32 v7, v37
	;; [unrolled: 2-line block ×7, first 2 shown]
	v_dual_mul_f32 v7, 0x3fb8aa3b, v7 :: v_dual_mul_f32 v26, 0x3fb8aa3b, v26
	s_wait_loadcnt 0x31
	v_cvt_f32_f16_e32 v42, v45
	v_cvt_f32_f16_e32 v41, v44
	s_wait_loadcnt 0x2f
	v_cvt_f32_f16_e32 v44, v47
	s_wait_loadcnt 0x2e
	v_cvt_f32_f16_e32 v45, v48
	v_exp_f32_e32 v26, v26
	s_wait_loadcnt 0x2c
	v_cvt_f32_f16_e32 v47, v50
	s_wait_loadcnt 0x2b
	v_cvt_f32_f16_e32 v48, v51
	v_dual_mul_f32 v37, 0x3fb8aa3b, v37 :: v_dual_mul_f32 v38, 0x3fb8aa3b, v38
	s_wait_loadcnt 0x28
	v_cvt_f32_f16_e32 v51, v54
	v_mul_f32_e32 v36, 0x3fb8aa3b, v36
	v_cvt_f32_f16_e32 v50, v53
	s_wait_loadcnt 0x25
	v_cvt_f32_f16_e32 v54, v57
	v_mul_f32_e32 v57, 0x3fb8aa3b, v6
	v_cvt_f32_f16_e32 v53, v56
	s_wait_loadcnt 0x23
	v_cvt_f32_f16_e32 v56, v59
	v_exp_f32_e32 v36, v36
	v_cvt_f16_f32_e32 v26, v26
	v_exp_f32_e32 v57, v57
	s_wait_loadcnt 0x22
	v_mul_f16_e32 v6, v5, v60
	s_wait_loadcnt 0x20
	v_cvt_f32_f16_e32 v59, v62
	s_wait_loadcnt 0x1f
	v_cvt_f32_f16_e32 v60, v63
	v_cvt_f32_f16_e32 v40, v43
	s_wait_loadcnt 0x1d
	v_cvt_f32_f16_e32 v62, v65
	v_exp_f32_e32 v65, v7
	s_wait_loadcnt 0x1c
	v_cvt_f32_f16_e32 v63, v66
	v_cvt_f32_f16_e32 v7, v6
	;; [unrolled: 1-line block ×3, first 2 shown]
	v_cvt_f16_f32_e32 v57, v57
	v_cvt_f32_f16_e32 v46, v49
	v_cvt_f32_f16_e32 v49, v52
	;; [unrolled: 1-line block ×5, first 2 shown]
	v_cvt_f16_f32_e32 v65, v65
	v_cvt_f32_f16_e32 v58, v61
	v_cvt_f32_f16_e32 v61, v64
	s_wait_loadcnt 0x1b
	v_cvt_f32_f16_e32 v64, v67
	v_exp_f32_e32 v37, v37
	v_cvt_f16_f32_e32 v36, v36
	v_fma_mix_f32 v57, -v6, v57, v5 op_sel_hi:[1,1,1]
	v_cvt_f32_f16_e32 v67, v65
	v_cvt_f32_f16_e32 v68, v26
	v_mul_f32_e64 v66, v7, -v66
	v_dual_mul_f32 v39, 0x3fb8aa3b, v39 :: v_dual_mul_f32 v40, 0x3fb8aa3b, v40
	v_exp_f32_e32 v38, v38
	v_fma_mix_f32 v65, -v6, v65, v5 op_sel_hi:[1,1,1]
	v_fma_mix_f32 v26, -v6, v26, v5 op_sel_hi:[1,1,1]
	v_cvt_f32_f16_e32 v69, v36
	v_mul_f32_e64 v67, v7, -v67
	v_mul_f32_e64 v68, v7, -v68
	s_wait_alu 0xfffd
	v_cndmask_b32_e32 v57, v66, v57, vcc_lo
	v_cmp_eq_u32_e32 vcc_lo, 8, v0
	v_exp_f32_e32 v39, v39
	v_cvt_f16_f32_e32 v37, v37
	v_fma_mix_f32 v36, -v6, v36, v5 op_sel_hi:[1,1,1]
	v_mul_f32_e64 v69, v7, -v69
	s_wait_alu 0xfffd
	v_cndmask_b32_e32 v65, v67, v65, vcc_lo
	v_cmp_eq_u32_e32 vcc_lo, 9, v0
	v_dual_mul_f32 v41, 0x3fb8aa3b, v41 :: v_dual_mul_f32 v42, 0x3fb8aa3b, v42
	v_exp_f32_e32 v40, v40
	v_cvt_f16_f32_e32 v38, v38
	v_cvt_f32_f16_e32 v70, v37
	s_wait_alu 0xfffd
	v_cndmask_b32_e32 v26, v68, v26, vcc_lo
	v_cmp_eq_u32_e32 vcc_lo, 10, v0
	v_exp_f32_e32 v41, v41
	v_cvt_f16_f32_e32 v39, v39
	v_fma_mix_f32 v37, -v6, v37, v5 op_sel_hi:[1,1,1]
	v_cvt_f32_f16_e32 v71, v38
	v_mul_f32_e64 v70, v7, -v70
	s_wait_alu 0xfffd
	v_cndmask_b32_e32 v36, v69, v36, vcc_lo
	v_cmp_eq_u32_e32 vcc_lo, 11, v0
	v_dual_mul_f32 v43, 0x3fb8aa3b, v43 :: v_dual_mul_f32 v44, 0x3fb8aa3b, v44
	v_exp_f32_e32 v42, v42
	v_cvt_f16_f32_e32 v40, v40
	v_fma_mix_f32 v38, -v6, v38, v5 op_sel_hi:[1,1,1]
	v_cvt_f32_f16_e32 v72, v39
	v_mul_f32_e64 v71, v7, -v71
	s_wait_alu 0xfffd
	v_cndmask_b32_e32 v37, v70, v37, vcc_lo
	v_cmp_eq_u32_e32 vcc_lo, 12, v0
	v_exp_f32_e32 v43, v43
	v_cvt_f16_f32_e32 v41, v41
	v_fma_mix_f32 v39, -v6, v39, v5 op_sel_hi:[1,1,1]
	v_cvt_f32_f16_e32 v73, v40
	v_mul_f32_e64 v72, v7, -v72
	s_wait_alu 0xfffd
	v_cndmask_b32_e32 v38, v71, v38, vcc_lo
	v_cmp_eq_u32_e32 vcc_lo, 13, v0
	v_dual_mul_f32 v45, 0x3fb8aa3b, v45 :: v_dual_mul_f32 v46, 0x3fb8aa3b, v46
	v_exp_f32_e32 v44, v44
	v_cvt_f16_f32_e32 v42, v42
	v_fma_mix_f32 v40, -v6, v40, v5 op_sel_hi:[1,1,1]
	v_cvt_f32_f16_e32 v74, v41
	v_mul_f32_e64 v73, v7, -v73
	;; [unrolled: 17-line block ×6, first 2 shown]
	s_wait_alu 0xfffd
	v_cndmask_b32_e32 v47, v80, v47, vcc_lo
	v_cmp_eq_u32_e32 vcc_lo, 22, v0
	v_dual_mul_f32 v59, 0x3fb8aa3b, v59 :: v_dual_mul_f32 v60, 0x3fb8aa3b, v60
	v_exp_f32_e32 v58, v58
	v_cvt_f16_f32_e32 v51, v51
	v_fma_mix_f32 v49, -v6, v49, v5 op_sel_hi:[1,1,1]
	v_cvt_f32_f16_e32 v83, v50
	v_mul_f32_e64 v82, v7, -v82
	s_wait_alu 0xfffd
	v_cndmask_b32_e32 v48, v81, v48, vcc_lo
	v_cmp_eq_u32_e32 vcc_lo, 23, v0
	v_exp_f32_e32 v59, v59
	v_cvt_f16_f32_e32 v52, v52
	v_fma_mix_f32 v50, -v6, v50, v5 op_sel_hi:[1,1,1]
	v_cvt_f32_f16_e32 v84, v51
	v_mul_f32_e64 v83, v7, -v83
	s_wait_alu 0xfffd
	v_cndmask_b32_e32 v49, v82, v49, vcc_lo
	v_cmp_eq_u32_e32 vcc_lo, 24, v0
	v_dual_mul_f32 v61, 0x3fb8aa3b, v61 :: v_dual_mul_f32 v62, 0x3fb8aa3b, v62
	v_exp_f32_e32 v60, v60
	v_fma_mix_f32 v51, -v6, v51, v5 op_sel_hi:[1,1,1]
	v_cvt_f32_f16_e32 v85, v52
	v_cvt_f16_f32_e32 v58, v58
	v_mul_f32_e64 v84, v7, -v84
	s_wait_alu 0xfffd
	v_cndmask_b32_e32 v50, v83, v50, vcc_lo
	v_cmp_eq_u32_e32 vcc_lo, 25, v0
	v_exp_f32_e32 v61, v61
	v_fma_mix_f32 v52, -v6, v52, v5 op_sel_hi:[1,1,1]
	v_cvt_f16_f32_e32 v59, v59
	v_mul_f32_e64 v85, v7, -v85
	v_cvt_f32_f16_e32 v88, v58
	s_wait_alu 0xfffd
	v_cndmask_b32_e32 v51, v84, v51, vcc_lo
	v_cmp_eq_u32_e32 vcc_lo, 26, v0
	v_dual_mul_f32 v63, 0x3fb8aa3b, v63 :: v_dual_mul_f32 v64, 0x3fb8aa3b, v64
	v_exp_f32_e32 v62, v62
	v_cvt_f16_f32_e32 v60, v60
	v_fma_mix_f32 v58, -v6, v58, v5 op_sel_hi:[1,1,1]
	v_cvt_f32_f16_e32 v89, v59
	s_wait_alu 0xfffd
	v_cndmask_b32_e32 v52, v85, v52, vcc_lo
	v_mul_f32_e64 v70, v7, -v88
	v_cmp_eq_u32_e32 vcc_lo, 0, v0
	v_exp_f32_e32 v63, v63
	v_cvt_f16_f32_e32 v61, v61
	v_fma_mix_f32 v59, -v6, v59, v5 op_sel_hi:[1,1,1]
	v_cvt_f32_f16_e32 v90, v60
	v_mul_f32_e64 v71, v7, -v89
	s_wait_alu 0xfffd
	v_cndmask_b32_e32 v58, v70, v58, vcc_lo
	v_cmp_eq_u32_e32 vcc_lo, 1, v0
	v_exp_f32_e32 v64, v64
	v_cvt_f16_f32_e32 v62, v62
	v_fma_mix_f32 v60, -v6, v60, v5 op_sel_hi:[1,1,1]
	v_cvt_f32_f16_e32 v66, v61
	v_mul_f32_e64 v72, v7, -v90
	s_wait_alu 0xfffd
	v_cndmask_b32_e32 v59, v71, v59, vcc_lo
	v_cmp_eq_u32_e32 vcc_lo, 2, v0
	v_cvt_f16_f32_e32 v63, v63
	v_fma_mix_f32 v61, -v6, v61, v5 op_sel_hi:[1,1,1]
	v_cvt_f32_f16_e32 v67, v62
	v_mul_f32_e64 v66, v7, -v66
	s_wait_alu 0xfffd
	v_cndmask_b32_e32 v60, v72, v60, vcc_lo
	v_cmp_eq_u32_e32 vcc_lo, 3, v0
	v_cvt_f16_f32_e32 v64, v64
	v_fma_mix_f32 v62, -v6, v62, v5 op_sel_hi:[1,1,1]
	v_cvt_f32_f16_e32 v68, v63
	v_mul_f32_e64 v67, v7, -v67
	s_wait_alu 0xfffd
	v_cndmask_b32_e32 v61, v66, v61, vcc_lo
	v_cmp_eq_u32_e32 vcc_lo, 4, v0
	v_fma_mix_f32 v63, -v6, v63, v5 op_sel_hi:[1,1,1]
	v_cvt_f32_f16_e32 v69, v64
	v_mul_f32_e64 v68, v7, -v68
	v_fma_mix_f32 v64, -v6, v64, v5 op_sel_hi:[1,1,1]
	s_wait_alu 0xfffd
	v_cndmask_b32_e32 v62, v67, v62, vcc_lo
	v_cmp_eq_u32_e32 vcc_lo, 5, v0
	v_mul_f32_e64 v69, v7, -v69
	v_cvt_f16_f32_e32 v65, v65
	v_dual_mul_f32 v53, 0x3fb8aa3b, v53 :: v_dual_mul_f32 v54, 0x3fb8aa3b, v54
	s_wait_alu 0xfffd
	v_cndmask_b32_e32 v63, v68, v63, vcc_lo
	v_cmp_eq_u32_e32 vcc_lo, 6, v0
	v_cvt_f16_f32_e32 v26, v26
	v_cvt_f16_f32_e32 v36, v36
	;; [unrolled: 1-line block ×15, first 2 shown]
	s_wait_alu 0xfffd
	v_cndmask_b32_e32 v64, v69, v64, vcc_lo
	s_clause 0xf
	global_store_b16 v[3:4], v65, off offset:139712
	global_store_b16 v[3:4], v26, off offset:157176
	;; [unrolled: 1-line block ×16, first 2 shown]
	v_cvt_f16_f32_e32 v26, v58
	v_exp_f32_e32 v53, v53
	v_cvt_f16_f32_e32 v36, v59
	v_cvt_f16_f32_e32 v37, v60
	;; [unrolled: 1-line block ×7, first 2 shown]
	s_clause 0x7
	global_store_b16 v[3:4], v26, off
	global_store_b16 v[3:4], v36, off offset:17464
	global_store_b16 v[3:4], v37, off offset:34928
	;; [unrolled: 1-line block ×7, first 2 shown]
	v_exp_f32_e32 v54, v54
	v_exp_f32_e32 v55, v55
	s_wait_loadcnt 0x1a
	v_cvt_f32_f16_e32 v41, v35
	s_clause 0x1
	global_load_u16 v26, v[1:2], off offset:1012912
	global_load_u16 v35, v[1:2], off offset:1030376
	v_cvt_f16_f32_e32 v53, v53
	v_cmp_eq_u32_e32 vcc_lo, 27, v0
	s_wait_loadcnt 0x1b
	v_cvt_f32_f16_e32 v34, v34
	v_mul_f32_e32 v41, 0x3fb8aa3b, v41
	s_wait_loadcnt 0x17
	v_cvt_f32_f16_e32 v30, v30
	v_cvt_f32_f16_e32 v86, v53
	v_cvt_f16_f32_e32 v54, v54
	v_cvt_f16_f32_e32 v55, v55
	v_fma_mix_f32 v53, -v6, v53, v5 op_sel_hi:[1,1,1]
	v_mul_f32_e32 v34, 0x3fb8aa3b, v34
	v_mul_f32_e64 v86, v7, -v86
	v_cvt_f32_f16_e32 v87, v54
	v_cvt_f32_f16_e32 v39, v55
	v_fma_mix_f32 v37, -v6, v54, v5 op_sel_hi:[1,1,1]
	v_fma_mix_f32 v42, -v6, v55, v5 op_sel_hi:[1,1,1]
	v_exp_f32_e32 v34, v34
	v_mul_f32_e64 v38, v7, -v87
	v_mul_f32_e64 v39, v7, -v39
	s_wait_alu 0xfffd
	v_cndmask_b32_e32 v36, v86, v53, vcc_lo
	v_cmp_eq_u32_e32 vcc_lo, 28, v0
	v_mul_f32_e32 v40, 0x3fb8aa3b, v56
	v_cvt_f32_f16_e32 v32, v32
	s_wait_loadcnt 0x16
	v_cvt_f32_f16_e32 v28, v28
	v_cvt_f16_f32_e32 v50, v50
	s_wait_alu 0xfffd
	v_cndmask_b32_e32 v37, v38, v37, vcc_lo
	v_exp_f32_e32 v40, v40
	v_exp_f32_e32 v38, v41
	v_cmp_eq_u32_e32 vcc_lo, 29, v0
	v_cvt_f16_f32_e32 v44, v34
	global_load_u16 v34, v[1:2], off offset:1065304
	s_wait_loadcnt 0x16
	v_cvt_f32_f16_e32 v29, v29
	s_wait_alu 0xfffd
	v_dual_mul_f32 v32, 0x3fb8aa3b, v32 :: v_dual_cndmask_b32 v39, v39, v42
	v_cvt_f16_f32_e32 v41, v36
	v_cmp_eq_u32_e32 vcc_lo, 30, v0
	v_cvt_f16_f32_e32 v40, v40
	v_cvt_f16_f32_e32 v38, v38
	v_cvt_f32_f16_e32 v42, v33
	global_load_u16 v33, v[1:2], off offset:1047840
	v_cvt_f16_f32_e32 v51, v51
	v_cvt_f32_f16_e32 v36, v40
	v_fma_mix_f32 v40, -v6, v40, v5 op_sel_hi:[1,1,1]
	v_cvt_f32_f16_e32 v43, v38
	v_fma_mix_f32 v38, -v6, v38, v5 op_sel_hi:[1,1,1]
	v_cvt_f16_f32_e32 v52, v52
	v_mul_f32_e64 v36, v7, -v36
	v_cvt_f16_f32_e32 v37, v37
	v_cvt_f16_f32_e32 v39, v39
	v_mul_f32_e32 v29, 0x3fb8aa3b, v29
	s_wait_loadcnt 0x16
	v_cvt_f32_f16_e32 v27, v27
	s_wait_alu 0xfffd
	v_cndmask_b32_e32 v36, v36, v40, vcc_lo
	v_mul_f32_e64 v40, v7, -v43
	v_cvt_f32_f16_e32 v43, v44
	v_cmp_eq_u32_e32 vcc_lo, 31, v0
	v_exp_f32_e32 v45, v29
	s_wait_loadcnt 0x15
	v_cvt_f32_f16_e32 v25, v25
	s_wait_loadcnt 0x14
	v_cvt_f32_f16_e32 v47, v23
	v_mul_f32_e64 v43, v7, -v43
	s_wait_alu 0xfffd
	v_cndmask_b32_e32 v38, v40, v38, vcc_lo
	v_fma_mix_f32 v40, -v6, v44, v5 op_sel_hi:[1,1,1]
	v_cmp_eq_u32_e32 vcc_lo, 32, v0
	v_cvt_f16_f32_e32 v44, v36
	v_mul_f32_e32 v25, 0x3fb8aa3b, v25
	v_cvt_f16_f32_e32 v38, v38
	s_wait_loadcnt 0x13
	v_cvt_f32_f16_e32 v24, v24
	s_wait_alu 0xfffd
	v_cndmask_b32_e32 v40, v43, v40, vcc_lo
	v_cmp_eq_u32_e32 vcc_lo, 33, v0
	v_mul_f32_e32 v42, 0x3fb8aa3b, v42
	v_exp_f32_e32 v43, v32
	s_clause 0x1
	global_load_u16 v32, v[1:2], off offset:1082768
	global_load_u16 v36, v[1:2], off offset:1100232
	s_clause 0x7
	global_store_b16 v[3:4], v50, off offset:419136
	global_store_b16 v[3:4], v51, off offset:436600
	;; [unrolled: 1-line block ×8, first 2 shown]
	v_cvt_f32_f16_e32 v37, v31
	v_exp_f32_e32 v42, v42
	v_cvt_f16_f32_e32 v38, v40
	global_load_u16 v31, v[1:2], off offset:1117696
	s_wait_loadcnt 0x14
	v_cvt_f32_f16_e32 v21, v21
	v_mul_f32_e32 v37, 0x3fb8aa3b, v37
	s_wait_loadcnt 0x13
	v_cvt_f32_f16_e32 v18, v18
	v_cvt_f16_f32_e32 v40, v43
	v_mul_f32_e32 v43, 0x3fb8aa3b, v30
	global_load_u16 v30, v[1:2], off offset:1135160
	v_exp_f32_e32 v37, v37
	v_cvt_f16_f32_e32 v42, v42
	v_mul_f32_e32 v21, 0x3fb8aa3b, v21
	s_wait_loadcnt 0x13
	v_cvt_f32_f16_e32 v19, v19
	v_mul_f32_e32 v18, 0x3fb8aa3b, v18
	s_wait_loadcnt 0x12
	v_cvt_f32_f16_e32 v20, v20
	v_cvt_f32_f16_e32 v39, v42
	v_fma_mix_f32 v41, -v6, v42, v5 op_sel_hi:[1,1,1]
	v_cvt_f32_f16_e32 v42, v40
	v_fma_mix_f32 v40, -v6, v40, v5 op_sel_hi:[1,1,1]
	v_cvt_f16_f32_e32 v37, v37
	v_mul_f32_e64 v39, v7, -v39
	v_mul_f32_e32 v19, 0x3fb8aa3b, v19
	v_exp_f32_e32 v18, v18
	s_wait_loadcnt 0x11
	v_cvt_f32_f16_e32 v17, v17
	s_wait_alu 0xfffd
	v_dual_mul_f32 v20, 0x3fb8aa3b, v20 :: v_dual_cndmask_b32 v39, v39, v41
	v_mul_f32_e64 v41, v7, -v42
	v_exp_f32_e32 v42, v43
	v_cmp_eq_u32_e32 vcc_lo, 34, v0
	v_cvt_f32_f16_e32 v43, v37
	v_fma_mix_f32 v37, -v6, v37, v5 op_sel_hi:[1,1,1]
	v_cvt_f16_f32_e32 v39, v39
	v_cvt_f16_f32_e32 v18, v18
	v_exp_f32_e32 v19, v19
	v_mul_f32_e64 v43, v7, -v43
	s_wait_alu 0xfffd
	v_cndmask_b32_e32 v40, v41, v40, vcc_lo
	v_mul_f32_e32 v41, 0x3fb8aa3b, v28
	global_load_u16 v28, v[1:2], off offset:1152624
	v_cvt_f16_f32_e32 v42, v42
	v_cmp_eq_u32_e32 vcc_lo, 35, v0
	v_mul_f32_e32 v17, 0x3fb8aa3b, v17
	v_exp_f32_e32 v41, v41
	v_exp_f32_e32 v20, v20
	v_cvt_f32_f16_e32 v44, v42
	s_wait_alu 0xfffd
	v_cndmask_b32_e32 v37, v43, v37, vcc_lo
	v_fma_mix_f32 v42, -v6, v42, v5 op_sel_hi:[1,1,1]
	v_cmp_eq_u32_e32 vcc_lo, 36, v0
	v_cvt_f16_f32_e32 v40, v40
	v_mul_f32_e64 v43, v7, -v44
	v_mul_f32_e32 v44, 0x3fb8aa3b, v27
	s_clause 0x1
	global_load_u16 v27, v[1:2], off offset:1170088
	global_load_u16 v29, v[1:2], off offset:1187552
	v_cvt_f16_f32_e32 v41, v41
	global_load_u16 v23, v[1:2], off offset:1222480
	s_wait_alu 0xfffd
	v_cndmask_b32_e32 v42, v43, v42, vcc_lo
	v_cvt_f16_f32_e32 v43, v45
	v_exp_f32_e32 v44, v44
	v_cvt_f32_f16_e32 v45, v41
	v_fma_mix_f32 v41, -v6, v41, v5 op_sel_hi:[1,1,1]
	v_cmp_eq_u32_e32 vcc_lo, 37, v0
	v_cvt_f32_f16_e32 v46, v43
	v_fma_mix_f32 v43, -v6, v43, v5 op_sel_hi:[1,1,1]
	v_mul_f32_e64 v45, v7, -v45
	v_cvt_f16_f32_e32 v37, v37
	s_wait_loadcnt 0x11
	v_cvt_f32_f16_e32 v9, v9
	v_mul_f32_e64 v46, v7, -v46
	v_cvt_f16_f32_e32 v44, v44
	s_wait_alu 0xfffd
	v_cndmask_b32_e32 v41, v45, v41, vcc_lo
	v_cmp_eq_u32_e32 vcc_lo, 38, v0
	v_cvt_f16_f32_e32 v19, v19
	v_cvt_f16_f32_e32 v20, v20
	v_cvt_f32_f16_e32 v45, v44
	v_fma_mix_f32 v44, -v6, v44, v5 op_sel_hi:[1,1,1]
	s_wait_alu 0xfffd
	v_cndmask_b32_e32 v43, v46, v43, vcc_lo
	v_exp_f32_e32 v46, v25
	global_load_u16 v25, v[1:2], off offset:1205016
	v_mul_f32_e64 v45, v7, -v45
	v_cmp_eq_u32_e32 vcc_lo, 39, v0
	v_cvt_f16_f32_e32 v42, v42
	v_cvt_f16_f32_e32 v41, v41
	;; [unrolled: 1-line block ×3, first 2 shown]
	v_exp_f32_e32 v17, v17
	s_wait_alu 0xfffd
	v_cndmask_b32_e32 v44, v45, v44, vcc_lo
	v_cmp_eq_u32_e32 vcc_lo, 40, v0
	v_cvt_f16_f32_e32 v45, v46
	v_dual_mul_f32 v46, 0x3fb8aa3b, v47 :: v_dual_mul_f32 v47, 0x3fb8aa3b, v24
	global_load_u16 v24, v[1:2], off offset:1239944
	v_cvt_f16_f32_e32 v44, v44
	v_cvt_f32_f16_e32 v48, v45
	v_exp_f32_e32 v46, v46
	v_exp_f32_e32 v47, v47
	s_clause 0x7
	global_store_b16 v[3:4], v38, off offset:558848
	global_store_b16 v[3:4], v39, off offset:576312
	;; [unrolled: 1-line block ×8, first 2 shown]
	v_fma_mix_f32 v37, -v6, v45, v5 op_sel_hi:[1,1,1]
	v_mul_f32_e64 v38, v7, -v48
	v_cvt_f32_f16_e32 v40, v22
	global_load_u16 v22, v[1:2], off offset:1257408
	v_exp_f32_e32 v43, v21
	v_cvt_f32_f16_e32 v16, v16
	s_wait_alu 0xfffd
	v_cndmask_b32_e32 v38, v38, v37, vcc_lo
	v_cvt_f16_f32_e32 v39, v46
	v_cvt_f16_f32_e32 v41, v47
	v_cmp_eq_u32_e32 vcc_lo, 41, v0
	v_cvt_f32_f16_e32 v47, v20
	s_wait_loadcnt 0x12
	v_cvt_f32_f16_e32 v11, v11
	v_cvt_f32_f16_e32 v37, v39
	v_fma_mix_f32 v39, -v6, v39, v5 op_sel_hi:[1,1,1]
	v_cvt_f32_f16_e32 v42, v41
	v_fma_mix_f32 v41, -v6, v41, v5 op_sel_hi:[1,1,1]
	v_cvt_f16_f32_e32 v43, v43
	v_mul_f32_e64 v37, v7, -v37
	v_dual_mul_f32 v16, 0x3fb8aa3b, v16 :: v_dual_mul_f32 v11, 0x3fb8aa3b, v11
	v_mul_f32_e64 v42, v7, -v42
	s_delay_alu instid0(VALU_DEP_4)
	v_cvt_f32_f16_e32 v44, v43
	s_wait_alu 0xfffd
	v_cndmask_b32_e32 v39, v37, v39, vcc_lo
	v_cmp_eq_u32_e32 vcc_lo, 42, v0
	v_mul_f32_e32 v40, 0x3fb8aa3b, v40
	s_clause 0x1
	global_load_u16 v21, v[1:2], off offset:1274872
	global_load_u16 v37, v[1:2], off offset:1292336
	v_fma_mix_f32 v43, -v6, v43, v5 op_sel_hi:[1,1,1]
	v_mul_f32_e64 v44, v7, -v44
	s_wait_alu 0xfffd
	v_cndmask_b32_e32 v41, v42, v41, vcc_lo
	v_exp_f32_e32 v40, v40
	v_cmp_eq_u32_e32 vcc_lo, 43, v0
	s_clause 0x2
	global_load_u16 v45, v[1:2], off offset:1309800
	global_load_u16 v46, v[1:2], off offset:1344728
	;; [unrolled: 1-line block ×3, first 2 shown]
	v_fma_mix_f32 v20, -v6, v20, v5 op_sel_hi:[1,1,1]
	v_cvt_f16_f32_e32 v17, v17
	v_exp_f32_e32 v16, v16
	v_cvt_f32_f16_e32 v8, v8
	v_cvt_f32_f16_e32 v12, v12
	v_cvt_f16_f32_e32 v40, v40
	s_wait_loadcnt 0x16
	v_cvt_f32_f16_e32 v15, v15
	v_cvt_f16_f32_e32 v38, v38
	v_mul_f32_e32 v8, 0x3fb8aa3b, v8
	s_wait_loadcnt 0x15
	v_cvt_f32_f16_e32 v13, v13
	v_cvt_f32_f16_e32 v42, v40
	v_fma_mix_f32 v40, -v6, v40, v5 op_sel_hi:[1,1,1]
	v_cvt_f16_f32_e32 v16, v16
	v_exp_f32_e32 v8, v8
	v_dual_mul_f32 v12, 0x3fb8aa3b, v12 :: v_dual_mul_f32 v13, 0x3fb8aa3b, v13
	v_mul_f32_e64 v42, v7, -v42
	v_cvt_f16_f32_e32 v39, v39
	v_cvt_f16_f32_e32 v41, v41
	v_mul_f32_e32 v9, 0x3fb8aa3b, v9
	s_wait_alu 0xfffd
	v_dual_mul_f32 v15, 0x3fb8aa3b, v15 :: v_dual_cndmask_b32 v40, v42, v40
	v_cmp_eq_u32_e32 vcc_lo, 44, v0
	v_exp_f32_e32 v12, v12
	v_cvt_f32_f16_e32 v10, v10
	v_cvt_f16_f32_e32 v8, v8
	v_exp_f32_e32 v9, v9
	s_wait_alu 0xfffd
	v_cndmask_b32_e32 v42, v44, v43, vcc_lo
	v_cvt_f32_f16_e32 v43, v18
	v_fma_mix_f32 v18, -v6, v18, v5 op_sel_hi:[1,1,1]
	v_cmp_eq_u32_e32 vcc_lo, 45, v0
	global_load_u16 v44, v[1:2], off offset:1327264
	v_cvt_f16_f32_e32 v42, v42
	v_mul_f32_e64 v43, v7, -v43
	v_mul_f32_e32 v10, 0x3fb8aa3b, v10
	v_cvt_f16_f32_e32 v12, v12
	v_cvt_f16_f32_e32 v9, v9
	v_exp_f32_e32 v11, v11
	s_wait_alu 0xfffd
	v_cndmask_b32_e32 v18, v43, v18, vcc_lo
	v_cvt_f32_f16_e32 v43, v19
	v_fma_mix_f32 v19, -v6, v19, v5 op_sel_hi:[1,1,1]
	v_cmp_eq_u32_e32 vcc_lo, 46, v0
	v_exp_f32_e32 v10, v10
	v_exp_f32_e32 v15, v15
	v_mul_f32_e64 v43, v7, -v43
	v_exp_f32_e32 v13, v13
	s_wait_loadcnt 0x15
	v_cvt_f32_f16_e32 v14, v14
	v_cvt_f16_f32_e32 v11, v11
	s_wait_alu 0xfffd
	v_cndmask_b32_e32 v19, v43, v19, vcc_lo
	v_mul_f32_e64 v43, v7, -v47
	s_clause 0x1
	global_load_u16 v47, v[1:2], off offset:1379656
	global_load_u16 v1, v[1:2], off offset:1397120
	v_cmp_eq_u32_e32 vcc_lo, 47, v0
	v_cvt_f16_f32_e32 v40, v40
	v_cvt_f16_f32_e32 v19, v19
	;; [unrolled: 1-line block ×4, first 2 shown]
	s_wait_alu 0xfffd
	v_cndmask_b32_e32 v2, v43, v20, vcc_lo
	v_cvt_f32_f16_e32 v20, v17
	v_fma_mix_f32 v17, -v6, v17, v5 op_sel_hi:[1,1,1]
	v_cmp_eq_u32_e32 vcc_lo, 48, v0
	v_cvt_f16_f32_e32 v13, v13
	v_cvt_f16_f32_e32 v2, v2
	v_mul_f32_e64 v20, v7, -v20
	s_wait_alu 0xfffd
	s_delay_alu instid0(VALU_DEP_1)
	v_cndmask_b32_e32 v17, v20, v17, vcc_lo
	v_cvt_f16_f32_e32 v18, v18
	s_clause 0x7
	global_store_b16 v[3:4], v38, off offset:698560
	global_store_b16 v[3:4], v39, off offset:716024
	;; [unrolled: 1-line block ×8, first 2 shown]
	v_cvt_f32_f16_e32 v2, v16
	v_fma_mix_f32 v16, -v6, v16, v5 op_sel_hi:[1,1,1]
	v_cmp_eq_u32_e32 vcc_lo, 49, v0
	v_cvt_f32_f16_e32 v18, v12
	v_fma_mix_f32 v12, -v6, v12, v5 op_sel_hi:[1,1,1]
	v_mul_f32_e64 v2, v7, -v2
	v_cvt_f16_f32_e32 v17, v17
	s_wait_alu 0xfffd
	s_delay_alu instid0(VALU_DEP_2) | instskip(SKIP_3) | instid1(VALU_DEP_3)
	v_cndmask_b32_e32 v2, v2, v16, vcc_lo
	v_cvt_f32_f16_e32 v16, v8
	v_fma_mix_f32 v8, -v6, v8, v5 op_sel_hi:[1,1,1]
	v_cmp_eq_u32_e32 vcc_lo, 50, v0
	v_mul_f32_e64 v16, v7, -v16
	s_wait_loadcnt 0x15
	v_cvt_f32_f16_e32 v19, v35
	s_wait_alu 0xfffd
	s_delay_alu instid0(VALU_DEP_2)
	v_cndmask_b32_e32 v8, v16, v8, vcc_lo
	v_mul_f32_e64 v16, v7, -v18
	v_cvt_f32_f16_e32 v18, v9
	v_cmp_eq_u32_e32 vcc_lo, 51, v0
	v_fma_mix_f32 v9, -v6, v9, v5 op_sel_hi:[1,1,1]
	v_mul_f32_e32 v19, 0x3fb8aa3b, v19
	v_cvt_f16_f32_e32 v8, v8
	s_wait_alu 0xfffd
	v_cndmask_b32_e32 v12, v16, v12, vcc_lo
	v_mul_f32_e64 v16, v7, -v18
	v_cvt_f32_f16_e32 v18, v10
	v_cmp_eq_u32_e32 vcc_lo, 52, v0
	v_fma_mix_f32 v10, -v6, v10, v5 op_sel_hi:[1,1,1]
	v_exp_f32_e32 v19, v19
	v_cvt_f16_f32_e32 v12, v12
	s_wait_alu 0xfffd
	v_cndmask_b32_e32 v9, v16, v9, vcc_lo
	v_mul_f32_e64 v16, v7, -v18
	v_cmp_eq_u32_e32 vcc_lo, 53, v0
	v_cvt_f32_f16_e32 v18, v15
	v_fma_mix_f32 v15, -v6, v15, v5 op_sel_hi:[1,1,1]
	v_cvt_f16_f32_e32 v9, v9
	s_wait_alu 0xfffd
	v_cndmask_b32_e32 v10, v16, v10, vcc_lo
	v_cvt_f32_f16_e32 v16, v11
	v_fma_mix_f32 v11, -v6, v11, v5 op_sel_hi:[1,1,1]
	v_cmp_eq_u32_e32 vcc_lo, 54, v0
	v_mul_f32_e64 v18, v7, -v18
	v_cvt_f16_f32_e32 v10, v10
	v_mul_f32_e64 v16, v7, -v16
	s_wait_alu 0xfffd
	s_delay_alu instid0(VALU_DEP_1)
	v_cndmask_b32_e32 v11, v16, v11, vcc_lo
	v_cmp_eq_u32_e32 vcc_lo, 55, v0
	v_cvt_f32_f16_e32 v16, v13
	v_fma_mix_f32 v13, -v6, v13, v5 op_sel_hi:[1,1,1]
	v_cvt_f16_f32_e32 v2, v2
	v_cvt_f16_f32_e32 v11, v11
	s_wait_alu 0xfffd
	v_cndmask_b32_e32 v15, v18, v15, vcc_lo
	v_mul_f32_e64 v16, v7, -v16
	v_cmp_eq_u32_e32 vcc_lo, 56, v0
	v_mul_f32_e32 v14, 0x3fb8aa3b, v14
	v_cvt_f32_f16_e32 v18, v26
	v_cvt_f16_f32_e32 v15, v15
	s_clause 0x7
	global_store_b16 v[3:4], v17, off offset:838272
	global_store_b16 v[3:4], v2, off offset:855736
	;; [unrolled: 1-line block ×8, first 2 shown]
	s_wait_alu 0xfffd
	v_cndmask_b32_e32 v13, v16, v13, vcc_lo
	v_exp_f32_e32 v14, v14
	v_cvt_f16_f32_e32 v12, v19
	s_wait_loadcnt 0x13
	v_cvt_f32_f16_e32 v8, v33
	v_cmp_eq_u32_e32 vcc_lo, 57, v0
	v_cvt_f16_f32_e32 v2, v13
	v_cvt_f32_f16_e32 v13, v34
	s_delay_alu instid0(TRANS32_DEP_1) | instskip(NEXT) | instid1(VALU_DEP_2)
	v_cvt_f16_f32_e32 v14, v14
	v_mul_f32_e32 v13, 0x3fb8aa3b, v13
	s_delay_alu instid0(VALU_DEP_2)
	v_cvt_f32_f16_e32 v16, v14
	v_fma_mix_f32 v9, -v6, v14, v5 op_sel_hi:[1,1,1]
	v_cvt_f32_f16_e32 v14, v12
	v_fma_mix_f32 v12, -v6, v12, v5 op_sel_hi:[1,1,1]
	v_exp_f32_e32 v13, v13
	v_mul_f32_e64 v10, v7, -v16
	s_wait_loadcnt 0x11
	v_cvt_f32_f16_e32 v15, v36
	v_mul_f32_e64 v14, v7, -v14
	v_mul_f32_e32 v18, 0x3fb8aa3b, v18
	s_wait_alu 0xfffd
	v_dual_mul_f32 v8, 0x3fb8aa3b, v8 :: v_dual_cndmask_b32 v9, v10, v9
	v_cmp_eq_u32_e32 vcc_lo, 58, v0
	v_mul_f32_e32 v15, 0x3fb8aa3b, v15
	v_exp_f32_e32 v18, v18
	s_delay_alu instid0(VALU_DEP_3) | instskip(SKIP_4) | instid1(VALU_DEP_3)
	v_exp_f32_e32 v8, v8
	v_cvt_f16_f32_e32 v13, v13
	s_wait_loadcnt 0x10
	v_cvt_f32_f16_e32 v17, v31
	v_cvt_f16_f32_e32 v9, v9
	v_cvt_f32_f16_e32 v16, v13
	v_fma_mix_f32 v13, -v6, v13, v5 op_sel_hi:[1,1,1]
	s_delay_alu instid0(TRANS32_DEP_2) | instskip(NEXT) | instid1(TRANS32_DEP_1)
	v_cvt_f16_f32_e32 v11, v18
	v_cvt_f16_f32_e32 v8, v8
	s_delay_alu instid0(VALU_DEP_2) | instskip(SKIP_1) | instid1(VALU_DEP_2)
	v_cvt_f32_f16_e32 v10, v11
	v_fma_mix_f32 v11, -v6, v11, v5 op_sel_hi:[1,1,1]
	v_mul_f32_e64 v10, v7, -v10
	s_wait_alu 0xfffd
	s_delay_alu instid0(VALU_DEP_1)
	v_cndmask_b32_e32 v10, v10, v11, vcc_lo
	v_cmp_eq_u32_e32 vcc_lo, 59, v0
	s_wait_alu 0xfffd
	v_cndmask_b32_e32 v11, v14, v12, vcc_lo
	v_cvt_f32_f16_e32 v12, v32
	v_cvt_f32_f16_e32 v14, v8
	s_wait_loadcnt 0xe
	v_cvt_f32_f16_e32 v19, v28
	v_fma_mix_f32 v8, -v6, v8, v5 op_sel_hi:[1,1,1]
	v_cmp_eq_u32_e32 vcc_lo, 60, v0
	v_mul_f32_e32 v12, 0x3fb8aa3b, v12
	v_mul_f32_e64 v14, v7, -v14
	v_mul_f32_e32 v19, 0x3fb8aa3b, v19
	v_cvt_f16_f32_e32 v11, v11
	s_delay_alu instid0(VALU_DEP_4)
	v_exp_f32_e32 v12, v12
	s_wait_alu 0xfffd
	v_cndmask_b32_e32 v8, v14, v8, vcc_lo
	v_exp_f32_e32 v14, v15
	v_mul_f32_e64 v15, v7, -v16
	v_mul_f32_e32 v16, 0x3fb8aa3b, v17
	v_cmp_eq_u32_e32 vcc_lo, 61, v0
	s_wait_loadcnt 0xc
	v_cvt_f32_f16_e32 v20, v29
	s_delay_alu instid0(TRANS32_DEP_2)
	v_cvt_f16_f32_e32 v12, v12
	s_wait_alu 0xfffd
	v_cndmask_b32_e32 v13, v15, v13, vcc_lo
	v_exp_f32_e32 v15, v16
	v_cvt_f16_f32_e32 v14, v14
	v_cmp_eq_u32_e32 vcc_lo, 62, v0
	v_cvt_f32_f16_e32 v17, v12
	v_fma_mix_f32 v12, -v6, v12, v5 op_sel_hi:[1,1,1]
	v_cvt_f32_f16_e32 v16, v30
	v_cvt_f32_f16_e32 v18, v14
	v_fma_mix_f32 v14, -v6, v14, v5 op_sel_hi:[1,1,1]
	v_mul_f32_e64 v17, v7, -v17
	v_cvt_f16_f32_e32 v10, v10
	v_cvt_f16_f32_e32 v15, v15
	v_mul_f32_e64 v18, v7, -v18
	v_cvt_f16_f32_e32 v13, v13
	s_wait_alu 0xfffd
	v_cndmask_b32_e32 v12, v17, v12, vcc_lo
	v_cmp_eq_u32_e32 vcc_lo, 63, v0
	v_cvt_f32_f16_e32 v17, v15
	v_fma_mix_f32 v15, -v6, v15, v5 op_sel_hi:[1,1,1]
	v_mul_f32_e32 v20, 0x3fb8aa3b, v20
	v_cvt_f16_f32_e32 v12, v12
	s_wait_alu 0xfffd
	v_cndmask_b32_e32 v14, v18, v14, vcc_lo
	v_mul_f32_e64 v17, v7, -v17
	v_cmp_eq_u32_e32 vcc_lo, 64, v0
	v_exp_f32_e32 v18, v19
	v_exp_f32_e32 v20, v20
	v_cvt_f16_f32_e32 v14, v14
	s_wait_alu 0xfffd
	v_cndmask_b32_e32 v15, v17, v15, vcc_lo
	v_cvt_f16_f32_e32 v8, v8
	v_cvt_f32_f16_e32 v17, v27
	v_mul_f32_e32 v16, 0x3fb8aa3b, v16
	s_clause 0x7
	global_store_b16 v[3:4], v2, off offset:977984
	global_store_b16 v[3:4], v9, off offset:995448
	;; [unrolled: 1-line block ×8, first 2 shown]
	s_wait_loadcnt 0xb
	v_cvt_f32_f16_e32 v13, v23
	v_cvt_f16_f32_e32 v18, v18
	v_mul_f32_e32 v17, 0x3fb8aa3b, v17
	v_exp_f32_e32 v16, v16
	v_cmp_eq_u32_e32 vcc_lo, 0x41, v0
	v_mul_f32_e32 v13, 0x3fb8aa3b, v13
	s_wait_loadcnt 0xa
	v_cvt_f32_f16_e32 v11, v25
	v_exp_f32_e32 v17, v17
	v_fma_mix_f32 v8, -v6, v18, v5 op_sel_hi:[1,1,1]
	v_cvt_f16_f32_e32 v2, v15
	v_exp_f32_e32 v13, v13
	v_mul_f32_e32 v11, 0x3fb8aa3b, v11
	v_cvt_f16_f32_e32 v16, v16
	s_delay_alu instid0(VALU_DEP_2) | instskip(NEXT) | instid1(TRANS32_DEP_3)
	v_exp_f32_e32 v11, v11
	v_cvt_f16_f32_e32 v12, v17
	s_delay_alu instid0(VALU_DEP_2) | instskip(SKIP_1) | instid1(TRANS32_DEP_2)
	v_cvt_f32_f16_e32 v19, v16
	v_fma_mix_f32 v16, -v6, v16, v5 op_sel_hi:[1,1,1]
	v_cvt_f16_f32_e32 v13, v13
	s_delay_alu instid0(VALU_DEP_4) | instskip(NEXT) | instid1(VALU_DEP_4)
	v_cvt_f32_f16_e32 v14, v12
	v_mul_f32_e64 v19, v7, -v19
	v_fma_mix_f32 v12, -v6, v12, v5 op_sel_hi:[1,1,1]
	s_delay_alu instid0(VALU_DEP_4) | instskip(SKIP_3) | instid1(VALU_DEP_4)
	v_cvt_f32_f16_e32 v17, v13
	v_fma_mix_f32 v13, -v6, v13, v5 op_sel_hi:[1,1,1]
	v_mul_f32_e64 v14, v7, -v14
	v_cvt_f16_f32_e32 v11, v11
	v_mul_f32_e64 v17, v7, -v17
	s_wait_alu 0xfffd
	v_cndmask_b32_e32 v16, v19, v16, vcc_lo
	v_cvt_f32_f16_e32 v19, v18
	v_cmp_eq_u32_e32 vcc_lo, 0x42, v0
	s_wait_loadcnt 0x6
	v_cvt_f32_f16_e32 v18, v37
	s_delay_alu instid0(VALU_DEP_3) | instskip(SKIP_1) | instid1(VALU_DEP_1)
	v_mul_f32_e64 v9, v7, -v19
	s_wait_alu 0xfffd
	v_cndmask_b32_e32 v8, v9, v8, vcc_lo
	v_cvt_f16_f32_e32 v9, v20
	v_cmp_eq_u32_e32 vcc_lo, 0x43, v0
	s_delay_alu instid0(VALU_DEP_2)
	v_cvt_f32_f16_e32 v15, v9
	v_fma_mix_f32 v9, -v6, v9, v5 op_sel_hi:[1,1,1]
	s_wait_alu 0xfffd
	v_cndmask_b32_e32 v12, v14, v12, vcc_lo
	v_cmp_eq_u32_e32 vcc_lo, 0x44, v0
	v_mul_f32_e64 v15, v7, -v15
	s_delay_alu instid0(VALU_DEP_3) | instskip(SKIP_1) | instid1(VALU_DEP_2)
	v_cvt_f16_f32_e32 v12, v12
	s_wait_alu 0xfffd
	v_cndmask_b32_e32 v9, v15, v9, vcc_lo
	v_cvt_f32_f16_e32 v15, v11
	v_fma_mix_f32 v11, -v6, v11, v5 op_sel_hi:[1,1,1]
	v_cmp_eq_u32_e32 vcc_lo, 0x45, v0
	s_delay_alu instid0(VALU_DEP_4) | instskip(NEXT) | instid1(VALU_DEP_4)
	v_cvt_f16_f32_e32 v9, v9
	v_mul_f32_e64 v15, v7, -v15
	s_wait_alu 0xfffd
	s_delay_alu instid0(VALU_DEP_1) | instskip(SKIP_1) | instid1(VALU_DEP_2)
	v_cndmask_b32_e32 v11, v15, v11, vcc_lo
	v_cmp_eq_u32_e32 vcc_lo, 0x46, v0
	v_cvt_f16_f32_e32 v11, v11
	s_wait_alu 0xfffd
	v_cndmask_b32_e32 v13, v17, v13, vcc_lo
	v_cvt_f16_f32_e32 v10, v16
	v_cvt_f32_f16_e32 v16, v24
	v_cvt_f32_f16_e32 v17, v21
	v_cmp_eq_u32_e32 vcc_lo, 0x47, v0
	v_cvt_f16_f32_e32 v13, v13
	s_delay_alu instid0(VALU_DEP_4) | instskip(NEXT) | instid1(VALU_DEP_1)
	v_mul_f32_e32 v16, 0x3fb8aa3b, v16
	v_exp_f32_e32 v14, v16
	v_cvt_f32_f16_e32 v16, v22
	s_wait_loadcnt 0x0
	v_cvt_f32_f16_e32 v1, v1
	s_delay_alu instid0(VALU_DEP_1) | instskip(NEXT) | instid1(TRANS32_DEP_1)
	v_dual_mul_f32 v16, 0x3fb8aa3b, v16 :: v_dual_mul_f32 v1, 0x3fb8aa3b, v1
	v_cvt_f16_f32_e32 v14, v14
	s_delay_alu instid0(VALU_DEP_2) | instskip(NEXT) | instid1(VALU_DEP_2)
	v_exp_f32_e32 v16, v16
	v_exp_f32_e32 v1, v1
	s_delay_alu instid0(VALU_DEP_1) | instskip(SKIP_1) | instid1(VALU_DEP_2)
	v_cvt_f32_f16_e32 v15, v14
	v_fma_mix_f32 v14, -v6, v14, v5 op_sel_hi:[1,1,1]
	v_mul_f32_e64 v15, v7, -v15
	s_delay_alu instid0(TRANS32_DEP_1) | instskip(SKIP_1) | instid1(VALU_DEP_2)
	v_cvt_f16_f32_e32 v1, v1
	s_wait_alu 0xfffd
	v_cndmask_b32_e32 v14, v15, v14, vcc_lo
	s_delay_alu instid0(TRANS32_DEP_2) | instskip(SKIP_2) | instid1(VALU_DEP_4)
	v_cvt_f16_f32_e32 v15, v16
	v_dual_mul_f32 v16, 0x3fb8aa3b, v17 :: v_dual_mul_f32 v17, 0x3fb8aa3b, v18
	v_cvt_f16_f32_e32 v8, v8
	v_cvt_f16_f32_e32 v14, v14
	s_delay_alu instid0(VALU_DEP_4) | instskip(NEXT) | instid1(VALU_DEP_4)
	v_cvt_f32_f16_e32 v18, v15
	v_exp_f32_e32 v16, v16
	v_exp_f32_e32 v17, v17
	s_clause 0x7
	global_store_b16 v[3:4], v2, off offset:1117696
	global_store_b16 v[3:4], v10, off offset:1135160
	global_store_b16 v[3:4], v8, off offset:1152624
	global_store_b16 v[3:4], v12, off offset:1170088
	global_store_b16 v[3:4], v9, off offset:1187552
	global_store_b16 v[3:4], v11, off offset:1205016
	global_store_b16 v[3:4], v13, off offset:1222480
	global_store_b16 v[3:4], v14, off offset:1239944
	v_cvt_f32_f16_e32 v2, v45
	v_fma_mix_f32 v8, -v6, v15, v5 op_sel_hi:[1,1,1]
	v_mul_f32_e64 v9, v7, -v18
	v_cmp_eq_u32_e32 vcc_lo, 0x48, v0
	v_cvt_f32_f16_e32 v13, v44
	v_mul_f32_e32 v2, 0x3fb8aa3b, v2
	v_cvt_f32_f16_e32 v14, v48
	v_cvt_f16_f32_e32 v10, v16
	v_cvt_f16_f32_e32 v11, v17
	s_wait_alu 0xfffd
	v_cndmask_b32_e32 v8, v9, v8, vcc_lo
	v_exp_f32_e32 v2, v2
	v_cmp_eq_u32_e32 vcc_lo, 0x49, v0
	v_cvt_f32_f16_e32 v9, v10
	v_cvt_f32_f16_e32 v12, v11
	v_fma_mix_f32 v10, -v6, v10, v5 op_sel_hi:[1,1,1]
	v_fma_mix_f32 v11, -v6, v11, v5 op_sel_hi:[1,1,1]
	v_mul_f32_e32 v13, 0x3fb8aa3b, v13
	v_mul_f32_e64 v9, v7, -v9
	v_mul_f32_e64 v12, v7, -v12
	v_mul_f32_e32 v14, 0x3fb8aa3b, v14
	v_cvt_f16_f32_e32 v2, v2
	v_cvt_f32_f16_e32 v15, v47
	s_wait_alu 0xfffd
	v_cndmask_b32_e32 v9, v9, v10, vcc_lo
	v_cmp_eq_u32_e32 vcc_lo, 0x4a, v0
	v_cvt_f32_f16_e32 v17, v1
	v_fma_mix_f32 v1, -v6, v1, v5 op_sel_hi:[1,1,1]
	s_delay_alu instid0(VALU_DEP_4)
	v_cvt_f16_f32_e32 v9, v9
	s_wait_alu 0xfffd
	v_cndmask_b32_e32 v10, v12, v11, vcc_lo
	v_cvt_f32_f16_e32 v12, v46
	v_exp_f32_e32 v11, v13
	v_cvt_f32_f16_e32 v13, v2
	v_fma_mix_f32 v2, -v6, v2, v5 op_sel_hi:[1,1,1]
	v_cmp_eq_u32_e32 vcc_lo, 0x4b, v0
	v_mul_f32_e32 v12, 0x3fb8aa3b, v12
	v_cvt_f16_f32_e32 v10, v10
	v_mul_f32_e64 v13, v7, -v13
	s_delay_alu instid0(VALU_DEP_3) | instskip(NEXT) | instid1(TRANS32_DEP_2)
	v_exp_f32_e32 v12, v12
	v_cvt_f16_f32_e32 v11, v11
	s_wait_alu 0xfffd
	s_delay_alu instid0(VALU_DEP_2)
	v_cndmask_b32_e32 v2, v13, v2, vcc_lo
	v_exp_f32_e32 v13, v14
	v_mul_f32_e32 v14, 0x3fb8aa3b, v15
	v_cmp_eq_u32_e32 vcc_lo, 0x4c, v0
	v_cvt_f32_f16_e32 v15, v11
	v_fma_mix_f32 v11, -v6, v11, v5 op_sel_hi:[1,1,1]
	v_cvt_f16_f32_e32 v2, v2
	v_exp_f32_e32 v14, v14
	v_cvt_f16_f32_e32 v12, v12
	v_mul_f32_e64 v15, v7, -v15
	s_delay_alu instid0(TRANS32_DEP_2) | instskip(NEXT) | instid1(VALU_DEP_3)
	v_cvt_f16_f32_e32 v13, v13
	v_cvt_f32_f16_e32 v16, v12
	s_wait_alu 0xfffd
	s_delay_alu instid0(VALU_DEP_3) | instskip(SKIP_2) | instid1(TRANS32_DEP_1)
	v_cndmask_b32_e32 v11, v15, v11, vcc_lo
	v_fma_mix_f32 v12, -v6, v12, v5 op_sel_hi:[1,1,1]
	v_cmp_eq_u32_e32 vcc_lo, 0x4d, v0
	v_cvt_f16_f32_e32 v14, v14
	v_mul_f32_e64 v15, v7, -v16
	v_cvt_f32_f16_e32 v16, v13
	v_fma_mix_f32 v13, -v6, v13, v5 op_sel_hi:[1,1,1]
	s_wait_alu 0xfffd
	s_delay_alu instid0(VALU_DEP_3)
	v_cndmask_b32_e32 v12, v15, v12, vcc_lo
	v_cvt_f32_f16_e32 v15, v14
	v_mul_f32_e64 v16, v7, -v16
	v_cmp_eq_u32_e32 vcc_lo, 0x4e, v0
	v_fma_mix_f32 v14, -v6, v14, v5 op_sel_hi:[1,1,1]
	v_mul_f32_e64 v5, v7, -v17
	v_mul_f32_e64 v15, v7, -v15
	s_wait_alu 0xfffd
	v_cndmask_b32_e32 v6, v16, v13, vcc_lo
	v_cmp_eq_u32_e32 vcc_lo, 0x4f, v0
	s_delay_alu instid0(VALU_DEP_2) | instskip(SKIP_4) | instid1(VALU_DEP_3)
	v_cvt_f16_f32_e32 v6, v6
	s_wait_alu 0xfffd
	v_cndmask_b32_e32 v7, v15, v14, vcc_lo
	v_cmp_eq_u32_e32 vcc_lo, 0x50, v0
	v_cvt_f16_f32_e32 v8, v8
	v_cvt_f16_f32_e32 v7, v7
	s_wait_alu 0xfffd
	v_cndmask_b32_e32 v0, v5, v1, vcc_lo
	v_cvt_f16_f32_e32 v1, v11
	v_cvt_f16_f32_e32 v5, v12
	s_delay_alu instid0(VALU_DEP_3)
	v_cvt_f16_f32_e32 v0, v0
	s_clause 0x8
	global_store_b16 v[3:4], v8, off offset:1257408
	global_store_b16 v[3:4], v9, off offset:1274872
	;; [unrolled: 1-line block ×9, first 2 shown]
.LBB0_4:
	s_endpgm
	.section	.rodata,"a",@progbits
	.p2align	6, 0x0
	.amdhsa_kernel _Z8loss_bwdI6__halfS0_EvPKT_PKT0_S6_PKlS3_S8_PS4_
		.amdhsa_group_segment_fixed_size 0
		.amdhsa_private_segment_fixed_size 0
		.amdhsa_kernarg_size 56
		.amdhsa_user_sgpr_count 2
		.amdhsa_user_sgpr_dispatch_ptr 0
		.amdhsa_user_sgpr_queue_ptr 0
		.amdhsa_user_sgpr_kernarg_segment_ptr 1
		.amdhsa_user_sgpr_dispatch_id 0
		.amdhsa_user_sgpr_private_segment_size 0
		.amdhsa_wavefront_size32 1
		.amdhsa_uses_dynamic_stack 0
		.amdhsa_enable_private_segment 0
		.amdhsa_system_sgpr_workgroup_id_x 1
		.amdhsa_system_sgpr_workgroup_id_y 1
		.amdhsa_system_sgpr_workgroup_id_z 0
		.amdhsa_system_sgpr_workgroup_info 0
		.amdhsa_system_vgpr_workitem_id 0
		.amdhsa_next_free_vgpr 91
		.amdhsa_next_free_sgpr 16
		.amdhsa_reserve_vcc 1
		.amdhsa_float_round_mode_32 0
		.amdhsa_float_round_mode_16_64 0
		.amdhsa_float_denorm_mode_32 3
		.amdhsa_float_denorm_mode_16_64 3
		.amdhsa_fp16_overflow 0
		.amdhsa_workgroup_processor_mode 1
		.amdhsa_memory_ordered 1
		.amdhsa_forward_progress 1
		.amdhsa_inst_pref_size 58
		.amdhsa_round_robin_scheduling 0
		.amdhsa_exception_fp_ieee_invalid_op 0
		.amdhsa_exception_fp_denorm_src 0
		.amdhsa_exception_fp_ieee_div_zero 0
		.amdhsa_exception_fp_ieee_overflow 0
		.amdhsa_exception_fp_ieee_underflow 0
		.amdhsa_exception_fp_ieee_inexact 0
		.amdhsa_exception_int_div_zero 0
	.end_amdhsa_kernel
	.text
.Lfunc_end0:
	.size	_Z8loss_bwdI6__halfS0_EvPKT_PKT0_S6_PKlS3_S8_PS4_, .Lfunc_end0-_Z8loss_bwdI6__halfS0_EvPKT_PKT0_S6_PKlS3_S8_PS4_
                                        ; -- End function
	.set _Z8loss_bwdI6__halfS0_EvPKT_PKT0_S6_PKlS3_S8_PS4_.num_vgpr, 91
	.set _Z8loss_bwdI6__halfS0_EvPKT_PKT0_S6_PKlS3_S8_PS4_.num_agpr, 0
	.set _Z8loss_bwdI6__halfS0_EvPKT_PKT0_S6_PKlS3_S8_PS4_.numbered_sgpr, 16
	.set _Z8loss_bwdI6__halfS0_EvPKT_PKT0_S6_PKlS3_S8_PS4_.num_named_barrier, 0
	.set _Z8loss_bwdI6__halfS0_EvPKT_PKT0_S6_PKlS3_S8_PS4_.private_seg_size, 0
	.set _Z8loss_bwdI6__halfS0_EvPKT_PKT0_S6_PKlS3_S8_PS4_.uses_vcc, 1
	.set _Z8loss_bwdI6__halfS0_EvPKT_PKT0_S6_PKlS3_S8_PS4_.uses_flat_scratch, 0
	.set _Z8loss_bwdI6__halfS0_EvPKT_PKT0_S6_PKlS3_S8_PS4_.has_dyn_sized_stack, 0
	.set _Z8loss_bwdI6__halfS0_EvPKT_PKT0_S6_PKlS3_S8_PS4_.has_recursion, 0
	.set _Z8loss_bwdI6__halfS0_EvPKT_PKT0_S6_PKlS3_S8_PS4_.has_indirect_call, 0
	.section	.AMDGPU.csdata,"",@progbits
; Kernel info:
; codeLenInByte = 7320
; TotalNumSgprs: 18
; NumVgprs: 91
; ScratchSize: 0
; MemoryBound: 0
; FloatMode: 240
; IeeeMode: 1
; LDSByteSize: 0 bytes/workgroup (compile time only)
; SGPRBlocks: 0
; VGPRBlocks: 11
; NumSGPRsForWavesPerEU: 18
; NumVGPRsForWavesPerEU: 91
; Occupancy: 16
; WaveLimiterHint : 1
; COMPUTE_PGM_RSRC2:SCRATCH_EN: 0
; COMPUTE_PGM_RSRC2:USER_SGPR: 2
; COMPUTE_PGM_RSRC2:TRAP_HANDLER: 0
; COMPUTE_PGM_RSRC2:TGID_X_EN: 1
; COMPUTE_PGM_RSRC2:TGID_Y_EN: 1
; COMPUTE_PGM_RSRC2:TGID_Z_EN: 0
; COMPUTE_PGM_RSRC2:TIDIG_COMP_CNT: 0
	.section	.text._Z8loss_bwdIffEvPKT_PKT0_S5_PKlS2_S7_PS3_,"axG",@progbits,_Z8loss_bwdIffEvPKT_PKT0_S5_PKlS2_S7_PS3_,comdat
	.protected	_Z8loss_bwdIffEvPKT_PKT0_S5_PKlS2_S7_PS3_ ; -- Begin function _Z8loss_bwdIffEvPKT_PKT0_S5_PKlS2_S7_PS3_
	.globl	_Z8loss_bwdIffEvPKT_PKT0_S5_PKlS2_S7_PS3_
	.p2align	8
	.type	_Z8loss_bwdIffEvPKT_PKT0_S5_PKlS2_S7_PS3_,@function
_Z8loss_bwdIffEvPKT_PKT0_S5_PKlS2_S7_PS3_: ; @_Z8loss_bwdIffEvPKT_PKT0_S5_PKlS2_S7_PS3_
; %bb.0:
	v_lshl_add_u32 v0, ttmp9, 6, v0
	s_mov_b32 s2, exec_lo
	s_delay_alu instid0(VALU_DEP_1)
	v_cmpx_gt_i32_e32 0x221c, v0
	s_cbranch_execz .LBB1_4
; %bb.1:
	s_load_b256 s[4:11], s[0:1], 0x18
	v_mad_co_u64_u32 v[4:5], null, 0x221c, ttmp7, v[0:1]
	s_load_b128 s[12:15], s[0:1], 0x0
	s_mov_b32 s2, exec_lo
	v_ashrrev_i32_e32 v5, 31, v4
	s_delay_alu instid0(VALU_DEP_1) | instskip(SKIP_2) | instid1(VALU_DEP_2)
	v_lshlrev_b64_e32 v[0:1], 3, v[4:5]
	v_lshlrev_b64_e32 v[2:3], 2, v[4:5]
	s_wait_kmcnt 0x0
	v_add_co_u32 v5, vcc_lo, s8, v0
	s_delay_alu instid0(VALU_DEP_1)
	v_add_co_ci_u32_e64 v6, null, s9, v1, vcc_lo
	v_add_co_u32 v0, vcc_lo, s4, v0
	s_wait_alu 0xfffd
	v_add_co_ci_u32_e64 v1, null, s5, v1, vcc_lo
	v_add_co_u32 v8, vcc_lo, s14, v2
	s_wait_alu 0xfffd
	v_add_co_ci_u32_e64 v9, null, s15, v3, vcc_lo
	global_load_b64 v[6:7], v[5:6], off
	global_load_b64 v[0:1], v[0:1], off
	global_load_b32 v5, v[8:9], off
	s_wait_loadcnt 0x2
	v_cmpx_ne_u64_e32 0, v[6:7]
	s_cbranch_execz .LBB1_3
; %bb.2:
	s_load_b64 s[0:1], s[0:1], 0x10
	s_wait_kmcnt 0x0
	v_add_co_u32 v6, vcc_lo, s0, v2
	s_wait_alu 0xfffd
	v_add_co_ci_u32_e64 v7, null, s1, v3, vcc_lo
	s_wait_loadcnt 0x1
	global_load_b32 v1, v[6:7], off
	s_wait_loadcnt 0x0
	v_add_f32_e32 v5, v5, v1
.LBB1_3:
	s_or_b32 exec_lo, exec_lo, s2
	s_wait_loadcnt 0x0
	s_delay_alu instid0(VALU_DEP_1) | instskip(SKIP_3) | instid1(VALU_DEP_3)
	v_mad_co_u64_u32 v[6:7], null, 0xaa8c0, ttmp7, v[4:5]
	v_add_co_u32 v1, vcc_lo, s6, v2
	s_wait_alu 0xfffd
	v_add_co_ci_u32_e64 v2, null, s7, v3, vcc_lo
	v_mad_co_u64_u32 v[9:10], null, 0x221c, v0, v[6:7]
	v_ashrrev_i32_e32 v7, 31, v6
	s_delay_alu instid0(VALU_DEP_1) | instskip(NEXT) | instid1(VALU_DEP_3)
	v_lshlrev_b64_e32 v[12:13], 2, v[6:7]
	v_ashrrev_i32_e32 v10, 31, v9
	s_delay_alu instid0(VALU_DEP_2) | instskip(SKIP_1) | instid1(VALU_DEP_3)
	v_add_co_u32 v3, vcc_lo, s12, v12
	s_wait_alu 0xfffd
	v_add_co_ci_u32_e64 v4, null, s13, v13, vcc_lo
	global_load_b32 v6, v[1:2], off
	s_clause 0x1f
	global_load_b32 v7, v[3:4], off offset:244496
	global_load_b32 v8, v[3:4], off offset:279424
	;; [unrolled: 1-line block ×32, first 2 shown]
	s_clause 0x1
	global_load_b32 v86, v[3:4], off offset:1362192
	global_load_b32 v87, v[3:4], off offset:1397120
	v_lshlrev_b64_e32 v[1:2], 2, v[9:10]
	s_delay_alu instid0(VALU_DEP_1) | instskip(SKIP_1) | instid1(VALU_DEP_2)
	v_add_co_u32 v1, vcc_lo, s12, v1
	s_wait_alu 0xfffd
	v_add_co_ci_u32_e64 v2, null, s13, v2, vcc_lo
	s_clause 0x9
	global_load_b32 v75, v[1:2], off
	global_load_b32 v76, v[3:4], off
	global_load_b32 v77, v[3:4], off offset:34928
	global_load_b32 v78, v[3:4], off offset:69856
	;; [unrolled: 1-line block ×8, first 2 shown]
	v_add_co_u32 v1, vcc_lo, s10, v12
	s_wait_alu 0xfffd
	v_add_co_ci_u32_e64 v2, null, s11, v13, vcc_lo
	s_clause 0x1f
	global_load_b32 v10, v[3:4], off offset:1501904
	global_load_b32 v12, v[3:4], off offset:1536832
	;; [unrolled: 1-line block ×32, first 2 shown]
	s_clause 0x5
	global_load_b32 v45, v[3:4], off offset:2619600
	global_load_b32 v51, v[3:4], off offset:2654528
	;; [unrolled: 1-line block ×6, first 2 shown]
	v_cmp_eq_u32_e32 vcc_lo, 7, v0
	s_wait_loadcnt 0x3e
	v_mul_f32_e64 v3, v6, -v5
	v_dual_mul_f32 v5, 0x3fb8aa3b, v7 :: v_dual_mul_f32 v6, 0x3fb8aa3b, v8
	v_dual_mul_f32 v7, 0x3fb8aa3b, v11 :: v_dual_mul_f32 v8, 0x3fb8aa3b, v16
	;; [unrolled: 1-line block ×3, first 2 shown]
	v_mul_f32_e32 v25, 0x3fb8aa3b, v41
	v_mul_f32_e32 v31, 0x3fb8aa3b, v47
	;; [unrolled: 1-line block ×5, first 2 shown]
	v_dual_mul_f32 v55, 0x3fb8aa3b, v57 :: v_dual_mul_f32 v56, 0x3fb8aa3b, v58
	v_dual_mul_f32 v57, 0x3fb8aa3b, v59 :: v_dual_mul_f32 v58, 0x3fb8aa3b, v60
	v_dual_mul_f32 v59, 0x3fb8aa3b, v61 :: v_dual_mul_f32 v60, 0x3fb8aa3b, v62
	v_dual_mul_f32 v61, 0x3fb8aa3b, v63 :: v_dual_mul_f32 v62, 0x3fb8aa3b, v64
	s_wait_loadcnt 0x3d
	v_dual_mul_f32 v63, 0x3fb8aa3b, v65 :: v_dual_mul_f32 v64, 0x3fb8aa3b, v66
	s_wait_loadcnt 0x3b
	v_dual_mul_f32 v65, 0x3fb8aa3b, v67 :: v_dual_mul_f32 v66, 0x3fb8aa3b, v68
	v_exp_f32_e32 v6, v6
	s_wait_loadcnt 0x39
	v_mul_f32_e32 v68, 0x3fb8aa3b, v70
	v_exp_f32_e32 v8, v8
	s_wait_loadcnt 0x37
	v_mul_f32_e32 v70, 0x3fb8aa3b, v72
	v_exp_f32_e32 v16, v16
	s_wait_loadcnt 0x35
	v_dual_mul_f32 v72, 0x3fb8aa3b, v74 :: v_dual_mul_f32 v67, 0x3fb8aa3b, v69
	s_wait_loadcnt 0x33
	v_dual_mul_f32 v74, 0x3fb8aa3b, v84 :: v_dual_mul_f32 v69, 0x3fb8aa3b, v71
	s_wait_loadcnt 0x31
	v_mul_f32_e32 v84, 0x3fb8aa3b, v86
	v_exp_f32_e32 v86, v5
	v_exp_f32_e32 v7, v7
	;; [unrolled: 1-line block ×5, first 2 shown]
	s_wait_loadcnt 0x2f
	v_mul_f32_e32 v5, v3, v75
	s_wait_loadcnt 0x2d
	v_dual_mul_f32 v75, 0x3fb8aa3b, v76 :: v_dual_mul_f32 v76, 0x3fb8aa3b, v77
	s_wait_loadcnt 0x2b
	v_dual_mul_f32 v77, 0x3fb8aa3b, v78 :: v_dual_mul_f32 v78, 0x3fb8aa3b, v79
	s_wait_loadcnt 0x29
	v_dual_mul_f32 v79, 0x3fb8aa3b, v80 :: v_dual_mul_f32 v80, 0x3fb8aa3b, v81
	s_wait_loadcnt 0x28
	v_mul_f32_e32 v81, 0x3fb8aa3b, v82
	v_fma_f32 v82, -v5, v86, v3
	v_mul_f32_e64 v86, v5, -v86
	v_mul_f32_e32 v71, 0x3fb8aa3b, v73
	v_fma_f32 v89, -v5, v8, v3
	v_mul_f32_e64 v8, v5, -v8
	s_wait_alu 0xfffd
	v_dual_mul_f32 v73, 0x3fb8aa3b, v83 :: v_dual_cndmask_b32 v82, v86, v82
	v_fma_f32 v86, -v5, v16, v3
	v_mul_f32_e64 v16, v5, -v16
	v_cmp_eq_u32_e32 vcc_lo, 8, v0
	v_mul_f32_e32 v83, 0x3fb8aa3b, v85
	v_mul_f32_e32 v85, 0x3fb8aa3b, v87
	v_fma_f32 v87, -v5, v6, v3
	v_mul_f32_e64 v6, v5, -v6
	v_fma_f32 v88, -v5, v7, v3
	v_mul_f32_e64 v7, v5, -v7
	;; [unrolled: 2-line block ×3, first 2 shown]
	s_wait_alu 0xfffd
	v_cndmask_b32_e32 v6, v6, v87, vcc_lo
	v_cmp_eq_u32_e32 vcc_lo, 9, v0
	v_exp_f32_e32 v41, v41
	v_fma_f32 v87, -v5, v25, v3
	v_mul_f32_e64 v25, v5, -v25
	v_exp_f32_e32 v47, v47
	s_wait_alu 0xfffd
	v_cndmask_b32_e32 v7, v7, v88, vcc_lo
	v_cmp_eq_u32_e32 vcc_lo, 10, v0
	v_fma_f32 v88, -v5, v31, v3
	v_mul_f32_e64 v31, v5, -v31
	v_exp_f32_e32 v53, v53
	v_exp_f32_e32 v55, v55
	s_wait_alu 0xfffd
	v_cndmask_b32_e32 v8, v8, v89, vcc_lo
	v_cmp_eq_u32_e32 vcc_lo, 11, v0
	v_fma_f32 v89, -v5, v41, v3
	v_mul_f32_e64 v41, v5, -v41
	v_exp_f32_e32 v56, v56
	;; [unrolled: 7-line block ×15, first 2 shown]
	v_exp_f32_e32 v85, v85
	s_wait_alu 0xfffd
	v_cndmask_b32_e32 v61, v61, v88, vcc_lo
	v_cmp_eq_u32_e32 vcc_lo, 25, v0
	v_fma_f32 v88, -v5, v66, v3
	v_mul_f32_e64 v66, v5, -v66
	s_wait_loadcnt 0x0
	v_dual_mul_f32 v13, 0x3fb8aa3b, v13 :: v_dual_mul_f32 v4, 0x3fb8aa3b, v4
	s_wait_alu 0xfffd
	v_cndmask_b32_e32 v62, v62, v89, vcc_lo
	v_cmp_eq_u32_e32 vcc_lo, 26, v0
	v_fma_f32 v89, -v5, v67, v3
	v_mul_f32_e64 v67, v5, -v67
	v_exp_f32_e32 v81, v81
	v_exp_f32_e32 v13, v13
	s_wait_alu 0xfffd
	v_cndmask_b32_e32 v63, v63, v90, vcc_lo
	v_cmp_eq_u32_e32 vcc_lo, 27, v0
	v_fma_f32 v90, -v5, v68, v3
	v_mul_f32_e64 v68, v5, -v68
	v_exp_f32_e32 v4, v4
	s_wait_alu 0xfffd
	v_cndmask_b32_e32 v64, v64, v86, vcc_lo
	v_cmp_eq_u32_e32 vcc_lo, 28, v0
	v_fma_f32 v86, -v5, v69, v3
	v_mul_f32_e64 v69, v5, -v69
	s_clause 0x1
	global_store_b32 v[1:2], v6, off offset:279424
	global_store_b32 v[1:2], v7, off offset:314352
	s_wait_alu 0xfffd
	v_cndmask_b32_e32 v65, v65, v87, vcc_lo
	v_cmp_eq_u32_e32 vcc_lo, 29, v0
	v_fma_f32 v87, -v5, v70, v3
	v_mul_f32_e64 v70, v5, -v70
	v_fma_f32 v6, -v5, v78, v3
	v_mul_f32_e64 v78, v5, -v78
	s_wait_alu 0xfffd
	v_cndmask_b32_e32 v66, v66, v88, vcc_lo
	v_cmp_eq_u32_e32 vcc_lo, 30, v0
	v_fma_f32 v88, -v5, v71, v3
	v_mul_f32_e64 v71, v5, -v71
	s_clause 0x1
	global_store_b32 v[1:2], v8, off offset:349280
	global_store_b32 v[1:2], v11, off offset:384208
	s_wait_alu 0xfffd
	v_cndmask_b32_e32 v67, v67, v89, vcc_lo
	v_cmp_eq_u32_e32 vcc_lo, 31, v0
	v_fma_f32 v89, -v5, v72, v3
	v_mul_f32_e64 v72, v5, -v72
	v_fma_f32 v7, -v5, v79, v3
	v_mul_f32_e64 v79, v5, -v79
	s_wait_alu 0xfffd
	v_cndmask_b32_e32 v68, v68, v90, vcc_lo
	v_cmp_eq_u32_e32 vcc_lo, 32, v0
	v_fma_f32 v90, -v5, v73, v3
	v_mul_f32_e64 v73, v5, -v73
	v_fma_f32 v8, -v5, v80, v3
	v_mul_f32_e64 v80, v5, -v80
	s_wait_alu 0xfffd
	v_cndmask_b32_e32 v69, v69, v86, vcc_lo
	v_cmp_eq_u32_e32 vcc_lo, 33, v0
	v_fma_f32 v86, -v5, v74, v3
	v_mul_f32_e64 v74, v5, -v74
	v_fma_f32 v11, -v5, v81, v3
	v_mul_f32_e64 v81, v5, -v81
	s_wait_alu 0xfffd
	v_cndmask_b32_e32 v70, v70, v87, vcc_lo
	v_cmp_eq_u32_e32 vcc_lo, 34, v0
	v_fma_f32 v87, -v5, v83, v3
	v_mul_f32_e64 v83, v5, -v83
	s_wait_alu 0xfffd
	v_cndmask_b32_e32 v71, v71, v88, vcc_lo
	v_cmp_eq_u32_e32 vcc_lo, 35, v0
	v_fma_f32 v88, -v5, v84, v3
	s_wait_alu 0xfffd
	v_cndmask_b32_e32 v72, v72, v89, vcc_lo
	v_cmp_eq_u32_e32 vcc_lo, 36, v0
	v_fma_f32 v89, -v5, v76, v3
	v_mul_f32_e64 v76, v5, -v76
	s_wait_alu 0xfffd
	v_cndmask_b32_e32 v73, v73, v90, vcc_lo
	v_cmp_eq_u32_e32 vcc_lo, 37, v0
	v_fma_f32 v90, -v5, v77, v3
	v_mul_f32_e64 v77, v5, -v77
	s_wait_alu 0xfffd
	v_cndmask_b32_e32 v74, v74, v86, vcc_lo
	v_fma_f32 v86, -v5, v75, v3
	v_mul_f32_e64 v75, v5, -v75
	v_cmp_eq_u32_e32 vcc_lo, 0, v0
	s_clause 0x13
	global_store_b32 v[1:2], v16, off offset:419136
	global_store_b32 v[1:2], v25, off offset:454064
	;; [unrolled: 1-line block ×20, first 2 shown]
	s_wait_alu 0xfffd
	v_cndmask_b32_e32 v16, v75, v86, vcc_lo
	v_cmp_eq_u32_e32 vcc_lo, 1, v0
	s_wait_alu 0xfffd
	v_cndmask_b32_e32 v25, v76, v89, vcc_lo
	v_cmp_eq_u32_e32 vcc_lo, 2, v0
	s_wait_alu 0xfffd
	v_cndmask_b32_e32 v31, v77, v90, vcc_lo
	v_cmp_eq_u32_e32 vcc_lo, 3, v0
	s_wait_alu 0xfffd
	v_cndmask_b32_e32 v6, v78, v6, vcc_lo
	v_cmp_eq_u32_e32 vcc_lo, 4, v0
	s_wait_alu 0xfffd
	v_cndmask_b32_e32 v7, v79, v7, vcc_lo
	v_cmp_eq_u32_e32 vcc_lo, 5, v0
	s_wait_alu 0xfffd
	v_cndmask_b32_e32 v8, v80, v8, vcc_lo
	v_cmp_eq_u32_e32 vcc_lo, 6, v0
	s_wait_alu 0xfffd
	v_cndmask_b32_e32 v11, v81, v11, vcc_lo
	v_cmp_eq_u32_e32 vcc_lo, 38, v0
	s_clause 0x7
	global_store_b32 v[1:2], v16, off
	global_store_b32 v[1:2], v25, off offset:34928
	global_store_b32 v[1:2], v31, off offset:69856
	;; [unrolled: 1-line block ×7, first 2 shown]
	v_mul_f32_e32 v8, 0x3fb8aa3b, v9
	v_mul_f32_e64 v6, v5, -v84
	v_mul_f32_e32 v9, 0x3fb8aa3b, v14
	s_wait_alu 0xfffd
	v_cndmask_b32_e32 v7, v83, v87, vcc_lo
	v_cmp_eq_u32_e32 vcc_lo, 39, v0
	v_exp_f32_e32 v8, v8
	v_fma_f32 v11, -v5, v85, v3
	v_mul_f32_e64 v14, v5, -v85
	v_exp_f32_e32 v9, v9
	s_wait_alu 0xfffd
	v_cndmask_b32_e32 v6, v6, v88, vcc_lo
	s_clause 0x7
	global_store_b32 v[1:2], v69, off offset:1117696
	global_store_b32 v[1:2], v70, off offset:1152624
	;; [unrolled: 1-line block ×8, first 2 shown]
	v_mul_f32_e32 v6, 0x3fb8aa3b, v10
	v_cmp_eq_u32_e32 vcc_lo, 40, v0
	v_fma_f32 v10, -v5, v8, v3
	v_mul_f32_e64 v8, v5, -v8
	s_wait_alu 0xfffd
	v_cndmask_b32_e32 v7, v14, v11, vcc_lo
	v_mul_f32_e32 v11, 0x3fb8aa3b, v12
	v_exp_f32_e32 v6, v6
	v_cmp_eq_u32_e32 vcc_lo, 41, v0
	v_fma_f32 v12, -v5, v9, v3
	v_mul_f32_e32 v14, 0x3fb8aa3b, v17
	v_mul_f32_e64 v9, v5, -v9
	v_exp_f32_e32 v11, v11
	s_wait_alu 0xfffd
	v_cndmask_b32_e32 v8, v8, v10, vcc_lo
	v_cmp_eq_u32_e32 vcc_lo, 42, v0
	v_exp_f32_e32 v10, v14
	v_mul_f32_e32 v14, 0x3fb8aa3b, v15
	v_mul_f32_e32 v15, 0x3fb8aa3b, v23
	s_wait_alu 0xfffd
	v_cndmask_b32_e32 v9, v9, v12, vcc_lo
	v_fma_f32 v12, -v5, v6, v3
	v_mul_f32_e64 v6, v5, -v6
	v_cmp_eq_u32_e32 vcc_lo, 43, v0
	v_fma_f32 v16, -v5, v11, v3
	v_mul_f32_e64 v11, v5, -v11
	v_exp_f32_e32 v14, v14
	v_fma_f32 v17, -v5, v10, v3
	s_wait_alu 0xfffd
	v_cndmask_b32_e32 v6, v6, v12, vcc_lo
	v_cmp_eq_u32_e32 vcc_lo, 44, v0
	v_exp_f32_e32 v15, v15
	v_mul_f32_e64 v10, v5, -v10
	s_wait_alu 0xfffd
	v_cndmask_b32_e32 v11, v11, v16, vcc_lo
	v_cmp_eq_u32_e32 vcc_lo, 45, v0
	v_fma_f32 v12, -v5, v14, v3
	v_mul_f32_e64 v14, v5, -v14
	s_wait_alu 0xfffd
	v_cndmask_b32_e32 v10, v10, v17, vcc_lo
	v_cmp_eq_u32_e32 vcc_lo, 46, v0
	v_fma_f32 v16, -v5, v15, v3
	v_mul_f32_e64 v15, v5, -v15
	s_wait_alu 0xfffd
	v_dual_mul_f32 v17, 0x3fb8aa3b, v21 :: v_dual_cndmask_b32 v12, v14, v12
	v_cmp_eq_u32_e32 vcc_lo, 47, v0
	s_wait_alu 0xfffd
	v_cndmask_b32_e32 v14, v15, v16, vcc_lo
	s_delay_alu instid0(VALU_DEP_3)
	v_exp_f32_e32 v15, v17
	v_mul_f32_e32 v16, 0x3fb8aa3b, v22
	s_clause 0x7
	global_store_b32 v[1:2], v7, off offset:1397120
	global_store_b32 v[1:2], v8, off offset:1432048
	;; [unrolled: 1-line block ×8, first 2 shown]
	v_fma_f32 v6, -v5, v13, v3
	v_mul_f32_e64 v9, v5, -v13
	v_cmp_eq_u32_e32 vcc_lo, 48, v0
	v_mul_f32_e32 v7, 0x3fb8aa3b, v19
	v_exp_f32_e32 v8, v16
	v_dual_mul_f32 v12, 0x3fb8aa3b, v24 :: v_dual_mul_f32 v13, 0x3fb8aa3b, v29
	v_fma_f32 v10, -v5, v15, v3
	v_mul_f32_e64 v11, v5, -v15
	s_wait_alu 0xfffd
	v_cndmask_b32_e32 v6, v9, v6, vcc_lo
	v_cmp_eq_u32_e32 vcc_lo, 49, v0
	v_exp_f32_e32 v7, v7
	v_exp_f32_e32 v12, v12
	;; [unrolled: 1-line block ×3, first 2 shown]
	v_mul_f32_e32 v17, 0x3fb8aa3b, v33
	s_wait_alu 0xfffd
	v_cndmask_b32_e32 v9, v11, v10, vcc_lo
	v_mul_f32_e32 v10, 0x3fb8aa3b, v18
	v_fma_f32 v11, -v5, v8, v3
	v_mul_f32_e64 v8, v5, -v8
	v_cmp_eq_u32_e32 vcc_lo, 50, v0
	s_delay_alu instid0(VALU_DEP_4)
	v_exp_f32_e32 v10, v10
	v_fma_f32 v14, -v5, v7, v3
	v_mul_f32_e64 v7, v5, -v7
	s_wait_alu 0xfffd
	v_cndmask_b32_e32 v8, v8, v11, vcc_lo
	v_cmp_eq_u32_e32 vcc_lo, 51, v0
	v_mul_f32_e32 v11, 0x3fb8aa3b, v30
	v_fma_f32 v15, -v5, v12, v3
	v_mul_f32_e64 v12, v5, -v12
	v_fma_f32 v16, -v5, v13, v3
	s_wait_alu 0xfffd
	v_cndmask_b32_e32 v7, v7, v14, vcc_lo
	v_fma_f32 v14, -v5, v10, v3
	v_mul_f32_e64 v10, v5, -v10
	v_cmp_eq_u32_e32 vcc_lo, 52, v0
	v_exp_f32_e32 v11, v11
	v_mul_f32_e64 v13, v5, -v13
	s_wait_alu 0xfffd
	v_cndmask_b32_e32 v10, v10, v14, vcc_lo
	v_cmp_eq_u32_e32 vcc_lo, 53, v0
	s_wait_alu 0xfffd
	v_cndmask_b32_e32 v12, v12, v15, vcc_lo
	v_cmp_eq_u32_e32 vcc_lo, 54, v0
	s_delay_alu instid0(TRANS32_DEP_1)
	v_fma_f32 v14, -v5, v11, v3
	v_mul_f32_e64 v11, v5, -v11
	v_mul_f32_e32 v15, 0x3fb8aa3b, v20
	s_wait_alu 0xfffd
	v_cndmask_b32_e32 v13, v13, v16, vcc_lo
	v_cmp_eq_u32_e32 vcc_lo, 55, v0
	s_wait_alu 0xfffd
	v_dual_mul_f32 v16, 0x3fb8aa3b, v27 :: v_dual_cndmask_b32 v11, v11, v14
	v_exp_f32_e32 v14, v15
	s_delay_alu instid0(VALU_DEP_1)
	v_exp_f32_e32 v15, v16
	v_exp_f32_e32 v16, v17
	s_clause 0x7
	global_store_b32 v[1:2], v6, off offset:1676544
	global_store_b32 v[1:2], v9, off offset:1711472
	;; [unrolled: 1-line block ×8, first 2 shown]
	v_mul_f32_e32 v8, 0x3fb8aa3b, v26
	v_cmp_eq_u32_e32 vcc_lo, 56, v0
	v_dual_mul_f32 v10, 0x3fb8aa3b, v32 :: v_dual_mul_f32 v17, 0x3fb8aa3b, v42
	s_delay_alu instid0(VALU_DEP_3)
	v_exp_f32_e32 v8, v8
	v_fma_f32 v6, -v5, v14, v3
	v_mul_f32_e64 v7, v5, -v14
	v_fma_f32 v9, -v5, v15, v3
	v_mul_f32_e64 v11, v5, -v15
	;; [unrolled: 2-line block ×3, first 2 shown]
	s_wait_alu 0xfffd
	v_cndmask_b32_e32 v6, v7, v6, vcc_lo
	v_cmp_eq_u32_e32 vcc_lo, 57, v0
	v_exp_f32_e32 v10, v10
	v_mul_f32_e32 v15, 0x3fb8aa3b, v38
	v_exp_f32_e32 v17, v17
	s_wait_alu 0xfffd
	v_cndmask_b32_e32 v7, v11, v9, vcc_lo
	v_cmp_eq_u32_e32 vcc_lo, 58, v0
	v_mul_f32_e32 v11, 0x3fb8aa3b, v28
	s_wait_alu 0xfffd
	v_cndmask_b32_e32 v9, v13, v12, vcc_lo
	v_fma_f32 v12, -v5, v8, v3
	v_mul_f32_e32 v13, 0x3fb8aa3b, v34
	v_mul_f32_e64 v8, v5, -v8
	v_exp_f32_e32 v11, v11
	v_cmp_eq_u32_e32 vcc_lo, 59, v0
	v_fma_f32 v14, -v5, v10, v3
	v_exp_f32_e32 v13, v13
	v_mul_f32_e64 v10, v5, -v10
	s_wait_alu 0xfffd
	v_cndmask_b32_e32 v8, v8, v12, vcc_lo
	v_cmp_eq_u32_e32 vcc_lo, 60, v0
	v_exp_f32_e32 v12, v15
	s_delay_alu instid0(TRANS32_DEP_3)
	v_fma_f32 v15, -v5, v11, v3
	v_mul_f32_e64 v11, v5, -v11
	s_wait_alu 0xfffd
	v_cndmask_b32_e32 v10, v10, v14, vcc_lo
	v_cmp_eq_u32_e32 vcc_lo, 61, v0
	v_mul_f32_e32 v14, 0x3fb8aa3b, v39
	v_fma_f32 v16, -v5, v13, v3
	v_mul_f32_e64 v13, v5, -v13
	s_wait_alu 0xfffd
	v_cndmask_b32_e32 v11, v11, v15, vcc_lo
	v_cmp_eq_u32_e32 vcc_lo, 62, v0
	v_exp_f32_e32 v14, v14
	v_fma_f32 v15, -v5, v12, v3
	v_mul_f32_e64 v12, v5, -v12
	s_wait_alu 0xfffd
	v_dual_cndmask_b32 v13, v13, v16 :: v_dual_mul_f32 v16, 0x3fb8aa3b, v35
	v_cmp_eq_u32_e32 vcc_lo, 63, v0
	s_delay_alu instid0(VALU_DEP_2) | instskip(SKIP_2) | instid1(TRANS32_DEP_2)
	v_exp_f32_e32 v16, v16
	s_wait_alu 0xfffd
	v_cndmask_b32_e32 v12, v12, v15, vcc_lo
	v_fma_f32 v15, -v5, v14, v3
	v_mul_f32_e64 v14, v5, -v14
	s_clause 0x7
	global_store_b32 v[1:2], v6, off offset:1955968
	global_store_b32 v[1:2], v7, off offset:1990896
	;; [unrolled: 1-line block ×8, first 2 shown]
	v_mul_f32_e32 v6, 0x3fb8aa3b, v36
	v_cmp_eq_u32_e32 vcc_lo, 64, v0
	v_mul_f32_e32 v10, 0x3fb8aa3b, v37
	v_fma_f32 v11, -v5, v17, v3
	v_mul_f32_e32 v12, 0x3fb8aa3b, v44
	v_fma_f32 v8, -v5, v16, v3
	s_wait_alu 0xfffd
	v_cndmask_b32_e32 v7, v14, v15, vcc_lo
	v_mul_f32_e64 v9, v5, -v16
	v_exp_f32_e32 v6, v6
	v_cmp_eq_u32_e32 vcc_lo, 0x41, v0
	v_mul_f32_e64 v13, v5, -v17
	v_exp_f32_e32 v10, v10
	v_dual_mul_f32 v14, 0x3fb8aa3b, v49 :: v_dual_mul_f32 v17, 0x3fb8aa3b, v46
	s_wait_alu 0xfffd
	v_cndmask_b32_e32 v8, v9, v8, vcc_lo
	v_cmp_eq_u32_e32 vcc_lo, 0x42, v0
	v_exp_f32_e32 v9, v12
	v_exp_f32_e32 v14, v14
	v_fma_f32 v12, -v5, v6, v3
	v_mul_f32_e64 v6, v5, -v6
	s_wait_alu 0xfffd
	v_cndmask_b32_e32 v11, v13, v11, vcc_lo
	v_mul_f32_e32 v13, 0x3fb8aa3b, v43
	v_cmp_eq_u32_e32 vcc_lo, 0x43, v0
	v_fma_f32 v15, -v5, v10, v3
	v_mul_f32_e64 v10, v5, -v10
	s_delay_alu instid0(VALU_DEP_4)
	v_exp_f32_e32 v13, v13
	s_wait_alu 0xfffd
	v_cndmask_b32_e32 v6, v6, v12, vcc_lo
	v_cmp_eq_u32_e32 vcc_lo, 0x44, v0
	v_fma_f32 v16, -v5, v9, v3
	v_mul_f32_e64 v9, v5, -v9
	s_wait_alu 0xfffd
	v_cndmask_b32_e32 v10, v10, v15, vcc_lo
	v_cmp_eq_u32_e32 vcc_lo, 0x45, v0
	v_fma_f32 v15, -v5, v14, v3
	v_fma_f32 v12, -v5, v13, v3
	v_mul_f32_e64 v13, v5, -v13
	v_mul_f32_e64 v14, v5, -v14
	s_wait_alu 0xfffd
	v_cndmask_b32_e32 v9, v9, v16, vcc_lo
	v_cmp_eq_u32_e32 vcc_lo, 0x46, v0
	v_mul_f32_e32 v16, 0x3fb8aa3b, v40
	s_wait_alu 0xfffd
	v_cndmask_b32_e32 v12, v13, v12, vcc_lo
	v_cmp_eq_u32_e32 vcc_lo, 0x47, v0
	s_wait_alu 0xfffd
	v_cndmask_b32_e32 v13, v14, v15, vcc_lo
	v_exp_f32_e32 v14, v16
	v_exp_f32_e32 v15, v17
	v_mul_f32_e32 v16, 0x3fb8aa3b, v48
	s_clause 0x7
	global_store_b32 v[1:2], v7, off offset:2235392
	global_store_b32 v[1:2], v8, off offset:2270320
	;; [unrolled: 1-line block ×8, first 2 shown]
	v_mul_f32_e32 v9, 0x3fb8aa3b, v45
	v_cmp_eq_u32_e32 vcc_lo, 0x48, v0
	v_mul_f32_e32 v10, 0x3fb8aa3b, v51
	v_exp_f32_e32 v8, v16
	v_mul_f32_e32 v12, 0x3fb8aa3b, v52
	v_exp_f32_e32 v9, v9
	v_fma_f32 v6, -v5, v14, v3
	v_mul_f32_e64 v7, v5, -v14
	v_mul_f32_e64 v11, v5, -v15
	v_exp_f32_e32 v10, v10
	v_mul_f32_e32 v14, 0x3fb8aa3b, v50
	s_wait_alu 0xfffd
	v_cndmask_b32_e32 v6, v7, v6, vcc_lo
	v_fma_f32 v7, -v5, v15, v3
	v_cmp_eq_u32_e32 vcc_lo, 0x49, v0
	v_fma_f32 v13, -v5, v8, v3
	v_mul_f32_e64 v8, v5, -v8
	v_mul_f32_e32 v15, 0x3fb8aa3b, v54
	v_exp_f32_e32 v14, v14
	s_wait_alu 0xfffd
	v_cndmask_b32_e32 v7, v11, v7, vcc_lo
	v_cmp_eq_u32_e32 vcc_lo, 0x4a, v0
	v_exp_f32_e32 v11, v12
	v_fma_f32 v12, -v5, v9, v3
	v_mul_f32_e64 v9, v5, -v9
	v_exp_f32_e32 v15, v15
	s_wait_alu 0xfffd
	v_cndmask_b32_e32 v8, v8, v13, vcc_lo
	v_cmp_eq_u32_e32 vcc_lo, 0x4b, v0
	v_fma_f32 v13, -v5, v10, v3
	v_mul_f32_e64 v10, v5, -v10
	s_wait_alu 0xfffd
	v_cndmask_b32_e32 v9, v9, v12, vcc_lo
	v_cmp_eq_u32_e32 vcc_lo, 0x4c, v0
	v_fma_f32 v16, -v5, v11, v3
	v_mul_f32_e64 v11, v5, -v11
	v_fma_f32 v12, -v5, v14, v3
	s_wait_alu 0xfffd
	v_cndmask_b32_e32 v10, v10, v13, vcc_lo
	v_cmp_eq_u32_e32 vcc_lo, 0x4d, v0
	v_mul_f32_e64 v13, v5, -v14
	v_fma_f32 v14, -v5, v15, v3
	v_mul_f32_e64 v15, v5, -v15
	v_fma_f32 v3, -v5, v4, v3
	s_wait_alu 0xfffd
	v_cndmask_b32_e32 v11, v11, v16, vcc_lo
	v_cmp_eq_u32_e32 vcc_lo, 0x4e, v0
	v_mul_f32_e64 v4, v5, -v4
	s_wait_alu 0xfffd
	v_cndmask_b32_e32 v5, v13, v12, vcc_lo
	v_cmp_eq_u32_e32 vcc_lo, 0x4f, v0
	s_wait_alu 0xfffd
	v_cndmask_b32_e32 v12, v15, v14, vcc_lo
	v_cmp_eq_u32_e32 vcc_lo, 0x50, v0
	s_wait_alu 0xfffd
	v_cndmask_b32_e32 v0, v4, v3, vcc_lo
	s_clause 0x8
	global_store_b32 v[1:2], v6, off offset:2514816
	global_store_b32 v[1:2], v7, off offset:2549744
	;; [unrolled: 1-line block ×9, first 2 shown]
.LBB1_4:
	s_endpgm
	.section	.rodata,"a",@progbits
	.p2align	6, 0x0
	.amdhsa_kernel _Z8loss_bwdIffEvPKT_PKT0_S5_PKlS2_S7_PS3_
		.amdhsa_group_segment_fixed_size 0
		.amdhsa_private_segment_fixed_size 0
		.amdhsa_kernarg_size 56
		.amdhsa_user_sgpr_count 2
		.amdhsa_user_sgpr_dispatch_ptr 0
		.amdhsa_user_sgpr_queue_ptr 0
		.amdhsa_user_sgpr_kernarg_segment_ptr 1
		.amdhsa_user_sgpr_dispatch_id 0
		.amdhsa_user_sgpr_private_segment_size 0
		.amdhsa_wavefront_size32 1
		.amdhsa_uses_dynamic_stack 0
		.amdhsa_enable_private_segment 0
		.amdhsa_system_sgpr_workgroup_id_x 1
		.amdhsa_system_sgpr_workgroup_id_y 1
		.amdhsa_system_sgpr_workgroup_id_z 0
		.amdhsa_system_sgpr_workgroup_info 0
		.amdhsa_system_vgpr_workitem_id 0
		.amdhsa_next_free_vgpr 91
		.amdhsa_next_free_sgpr 16
		.amdhsa_reserve_vcc 1
		.amdhsa_float_round_mode_32 0
		.amdhsa_float_round_mode_16_64 0
		.amdhsa_float_denorm_mode_32 3
		.amdhsa_float_denorm_mode_16_64 3
		.amdhsa_fp16_overflow 0
		.amdhsa_workgroup_processor_mode 1
		.amdhsa_memory_ordered 1
		.amdhsa_forward_progress 1
		.amdhsa_inst_pref_size 45
		.amdhsa_round_robin_scheduling 0
		.amdhsa_exception_fp_ieee_invalid_op 0
		.amdhsa_exception_fp_denorm_src 0
		.amdhsa_exception_fp_ieee_div_zero 0
		.amdhsa_exception_fp_ieee_overflow 0
		.amdhsa_exception_fp_ieee_underflow 0
		.amdhsa_exception_fp_ieee_inexact 0
		.amdhsa_exception_int_div_zero 0
	.end_amdhsa_kernel
	.section	.text._Z8loss_bwdIffEvPKT_PKT0_S5_PKlS2_S7_PS3_,"axG",@progbits,_Z8loss_bwdIffEvPKT_PKT0_S5_PKlS2_S7_PS3_,comdat
.Lfunc_end1:
	.size	_Z8loss_bwdIffEvPKT_PKT0_S5_PKlS2_S7_PS3_, .Lfunc_end1-_Z8loss_bwdIffEvPKT_PKT0_S5_PKlS2_S7_PS3_
                                        ; -- End function
	.set _Z8loss_bwdIffEvPKT_PKT0_S5_PKlS2_S7_PS3_.num_vgpr, 91
	.set _Z8loss_bwdIffEvPKT_PKT0_S5_PKlS2_S7_PS3_.num_agpr, 0
	.set _Z8loss_bwdIffEvPKT_PKT0_S5_PKlS2_S7_PS3_.numbered_sgpr, 16
	.set _Z8loss_bwdIffEvPKT_PKT0_S5_PKlS2_S7_PS3_.num_named_barrier, 0
	.set _Z8loss_bwdIffEvPKT_PKT0_S5_PKlS2_S7_PS3_.private_seg_size, 0
	.set _Z8loss_bwdIffEvPKT_PKT0_S5_PKlS2_S7_PS3_.uses_vcc, 1
	.set _Z8loss_bwdIffEvPKT_PKT0_S5_PKlS2_S7_PS3_.uses_flat_scratch, 0
	.set _Z8loss_bwdIffEvPKT_PKT0_S5_PKlS2_S7_PS3_.has_dyn_sized_stack, 0
	.set _Z8loss_bwdIffEvPKT_PKT0_S5_PKlS2_S7_PS3_.has_recursion, 0
	.set _Z8loss_bwdIffEvPKT_PKT0_S5_PKlS2_S7_PS3_.has_indirect_call, 0
	.section	.AMDGPU.csdata,"",@progbits
; Kernel info:
; codeLenInByte = 5752
; TotalNumSgprs: 18
; NumVgprs: 91
; ScratchSize: 0
; MemoryBound: 0
; FloatMode: 240
; IeeeMode: 1
; LDSByteSize: 0 bytes/workgroup (compile time only)
; SGPRBlocks: 0
; VGPRBlocks: 11
; NumSGPRsForWavesPerEU: 18
; NumVGPRsForWavesPerEU: 91
; Occupancy: 16
; WaveLimiterHint : 1
; COMPUTE_PGM_RSRC2:SCRATCH_EN: 0
; COMPUTE_PGM_RSRC2:USER_SGPR: 2
; COMPUTE_PGM_RSRC2:TRAP_HANDLER: 0
; COMPUTE_PGM_RSRC2:TGID_X_EN: 1
; COMPUTE_PGM_RSRC2:TGID_Y_EN: 1
; COMPUTE_PGM_RSRC2:TGID_Z_EN: 0
; COMPUTE_PGM_RSRC2:TIDIG_COMP_CNT: 0
	.section	.text._Z8loss_bwdIddEvPKT_PKT0_S5_PKlS2_S7_PS3_,"axG",@progbits,_Z8loss_bwdIddEvPKT_PKT0_S5_PKlS2_S7_PS3_,comdat
	.protected	_Z8loss_bwdIddEvPKT_PKT0_S5_PKlS2_S7_PS3_ ; -- Begin function _Z8loss_bwdIddEvPKT_PKT0_S5_PKlS2_S7_PS3_
	.globl	_Z8loss_bwdIddEvPKT_PKT0_S5_PKlS2_S7_PS3_
	.p2align	8
	.type	_Z8loss_bwdIddEvPKT_PKT0_S5_PKlS2_S7_PS3_,@function
_Z8loss_bwdIddEvPKT_PKT0_S5_PKlS2_S7_PS3_: ; @_Z8loss_bwdIddEvPKT_PKT0_S5_PKlS2_S7_PS3_
; %bb.0:
	v_lshl_add_u32 v0, ttmp9, 6, v0
	s_mov_b32 s2, exec_lo
	s_delay_alu instid0(VALU_DEP_1)
	v_cmpx_gt_i32_e32 0x221c, v0
	s_cbranch_execz .LBB2_4
; %bb.1:
	s_load_b256 s[4:11], s[0:1], 0x18
	v_mad_co_u64_u32 v[2:3], null, 0x221c, ttmp7, v[0:1]
	s_load_b128 s[12:15], s[0:1], 0x0
	s_mov_b32 s2, exec_lo
	v_ashrrev_i32_e32 v3, 31, v2
	s_delay_alu instid0(VALU_DEP_1) | instskip(SKIP_1) | instid1(VALU_DEP_1)
	v_lshlrev_b64_e32 v[3:4], 3, v[2:3]
	s_wait_kmcnt 0x0
	v_add_co_u32 v0, vcc_lo, s8, v3
	s_delay_alu instid0(VALU_DEP_1)
	v_add_co_ci_u32_e64 v1, null, s9, v4, vcc_lo
	v_add_co_u32 v5, vcc_lo, s4, v3
	s_wait_alu 0xfffd
	v_add_co_ci_u32_e64 v6, null, s5, v4, vcc_lo
	v_add_co_u32 v9, vcc_lo, s14, v3
	s_wait_alu 0xfffd
	v_add_co_ci_u32_e64 v10, null, s15, v4, vcc_lo
	global_load_b64 v[7:8], v[0:1], off
	global_load_b64 v[0:1], v[5:6], off
	;; [unrolled: 1-line block ×3, first 2 shown]
	s_wait_loadcnt 0x2
	v_cmpx_ne_u64_e32 0, v[7:8]
	s_cbranch_execz .LBB2_3
; %bb.2:
	s_load_b64 s[0:1], s[0:1], 0x10
	s_wait_kmcnt 0x0
	v_add_co_u32 v7, vcc_lo, s0, v3
	s_wait_alu 0xfffd
	v_add_co_ci_u32_e64 v8, null, s1, v4, vcc_lo
	global_load_b64 v[7:8], v[7:8], off
	s_wait_loadcnt 0x0
	v_add_f64_e32 v[5:6], v[5:6], v[7:8]
.LBB2_3:
	s_or_b32 exec_lo, exec_lo, s2
	s_wait_loadcnt 0x1
	v_mad_co_u64_u32 v[1:2], null, 0xaa8c0, ttmp7, v[2:3]
	s_mov_b32 s2, 0x652b82fe
	s_mov_b32 s3, 0x3ff71547
	;; [unrolled: 1-line block ×6, first 2 shown]
	v_mad_co_u64_u32 v[7:8], null, 0x221c, v0, v[1:2]
	v_add_co_u32 v2, vcc_lo, s6, v3
	s_wait_alu 0xfffd
	v_add_co_ci_u32_e64 v3, null, s7, v4, vcc_lo
	s_mov_b32 s6, 0x3b39803f
	s_mov_b32 s7, 0xbc7abc9e
	v_ashrrev_i32_e32 v8, 31, v7
	global_load_b64 v[2:3], v[2:3], off
	s_mov_b32 s14, 0x623fde64
	s_mov_b32 s15, 0x3ec71dee
	;; [unrolled: 1-line block ×16, first 2 shown]
	s_wait_loadcnt 0x0
	v_mul_f64_e64 v[5:6], v[2:3], -v[5:6]
	v_lshlrev_b64_e32 v[2:3], 3, v[7:8]
	s_delay_alu instid0(VALU_DEP_1) | instskip(SKIP_1) | instid1(VALU_DEP_2)
	v_add_co_u32 v2, vcc_lo, s12, v2
	s_wait_alu 0xfffd
	v_add_co_ci_u32_e64 v3, null, s13, v3, vcc_lo
	global_load_b64 v[2:3], v[2:3], off
	v_cvt_f32_f64_e32 v7, v[5:6]
	s_wait_loadcnt 0x0
	v_mul_f64_e32 v[2:3], v[5:6], v[2:3]
	s_delay_alu instid0(VALU_DEP_1) | instskip(NEXT) | instid1(VALU_DEP_1)
	v_cvt_f32_f64_e32 v2, v[2:3]
	v_cvt_f64_f32_e32 v[3:4], v2
	v_ashrrev_i32_e32 v2, 31, v1
	s_delay_alu instid0(VALU_DEP_1) | instskip(NEXT) | instid1(VALU_DEP_1)
	v_lshlrev_b64_e32 v[1:2], 3, v[1:2]
	v_add_co_u32 v5, vcc_lo, s12, v1
	s_wait_alu 0xfffd
	s_delay_alu instid0(VALU_DEP_2)
	v_add_co_ci_u32_e64 v6, null, s13, v2, vcc_lo
	s_mov_b32 s12, 0x6a5dcb37
	s_mov_b32 s13, 0x3e5ade15
	global_load_b64 v[8:9], v[5:6], off
	s_wait_loadcnt 0x0
	v_mul_f64_e32 v[10:11], s[2:3], v[8:9]
	v_cmp_nlt_f64_e32 vcc_lo, 0x40900000, v[8:9]
	v_cmp_ngt_f64_e64 s0, 0xc090cc00, v[8:9]
	s_delay_alu instid0(VALU_DEP_3) | instskip(SKIP_1) | instid1(VALU_DEP_1)
	v_rndne_f64_e32 v[10:11], v[10:11]
	s_wait_alu 0xfffe
	v_fma_f64 v[12:13], v[10:11], s[4:5], v[8:9]
	s_delay_alu instid0(VALU_DEP_1) | instskip(SKIP_1) | instid1(VALU_DEP_2)
	v_fma_f64 v[12:13], v[10:11], s[6:7], v[12:13]
	v_cvt_i32_f64_e32 v10, v[10:11]
	v_fma_f64 v[14:15], v[12:13], s[12:13], s[8:9]
	s_delay_alu instid0(VALU_DEP_1) | instskip(NEXT) | instid1(VALU_DEP_1)
	v_fma_f64 v[14:15], v[12:13], v[14:15], s[14:15]
	v_fma_f64 v[14:15], v[12:13], v[14:15], s[16:17]
	s_delay_alu instid0(VALU_DEP_1) | instskip(NEXT) | instid1(VALU_DEP_1)
	v_fma_f64 v[14:15], v[12:13], v[14:15], s[18:19]
	v_fma_f64 v[14:15], v[12:13], v[14:15], s[20:21]
	s_delay_alu instid0(VALU_DEP_1) | instskip(NEXT) | instid1(VALU_DEP_1)
	v_fma_f64 v[14:15], v[12:13], v[14:15], s[22:23]
	v_fma_f64 v[14:15], v[12:13], v[14:15], s[24:25]
	s_delay_alu instid0(VALU_DEP_1) | instskip(NEXT) | instid1(VALU_DEP_1)
	v_fma_f64 v[14:15], v[12:13], v[14:15], s[26:27]
	v_fma_f64 v[14:15], v[12:13], v[14:15], s[28:29]
	s_delay_alu instid0(VALU_DEP_1) | instskip(NEXT) | instid1(VALU_DEP_1)
	v_fma_f64 v[14:15], v[12:13], v[14:15], 1.0
	v_fma_f64 v[12:13], v[12:13], v[14:15], 1.0
	s_delay_alu instid0(VALU_DEP_1) | instskip(SKIP_1) | instid1(VALU_DEP_1)
	v_ldexp_f64 v[10:11], v[12:13], v10
	s_wait_alu 0xfffd
	v_cndmask_b32_e32 v11, 0x7ff00000, v11, vcc_lo
	s_and_b32 vcc_lo, s0, vcc_lo
	s_wait_alu 0xfffe
	s_delay_alu instid0(VALU_DEP_2) | instskip(SKIP_2) | instid1(VALU_DEP_1)
	v_cndmask_b32_e32 v8, 0, v10, vcc_lo
	v_cmp_eq_u32_e32 vcc_lo, 0, v0
	v_cndmask_b32_e64 v9, 0, v11, s0
	v_mul_f64_e32 v[8:9], v[8:9], v[3:4]
	s_delay_alu instid0(VALU_DEP_1) | instskip(NEXT) | instid1(VALU_DEP_1)
	v_cvt_f32_f64_e32 v8, v[8:9]
	v_sub_f32_e32 v9, v7, v8
	s_wait_alu 0xfffd
	s_delay_alu instid0(VALU_DEP_1) | instskip(SKIP_3) | instid1(VALU_DEP_3)
	v_cndmask_b32_e64 v8, -v8, v9, vcc_lo
	v_add_co_u32 v1, vcc_lo, s10, v1
	s_wait_alu 0xfffd
	v_add_co_ci_u32_e64 v2, null, s11, v2, vcc_lo
	v_cvt_f64_f32_e32 v[8:9], v8
	global_store_b64 v[1:2], v[8:9], off
	global_load_b64 v[8:9], v[5:6], off offset:69856
	s_wait_loadcnt 0x0
	v_mul_f64_e32 v[10:11], s[2:3], v[8:9]
	v_cmp_nlt_f64_e32 vcc_lo, 0x40900000, v[8:9]
	v_cmp_ngt_f64_e64 s0, 0xc090cc00, v[8:9]
	s_delay_alu instid0(VALU_DEP_3) | instskip(NEXT) | instid1(VALU_DEP_1)
	v_rndne_f64_e32 v[10:11], v[10:11]
	v_fma_f64 v[12:13], v[10:11], s[4:5], v[8:9]
	s_delay_alu instid0(VALU_DEP_1) | instskip(SKIP_1) | instid1(VALU_DEP_2)
	v_fma_f64 v[12:13], v[10:11], s[6:7], v[12:13]
	v_cvt_i32_f64_e32 v10, v[10:11]
	v_fma_f64 v[14:15], v[12:13], s[12:13], s[8:9]
	s_delay_alu instid0(VALU_DEP_1) | instskip(NEXT) | instid1(VALU_DEP_1)
	v_fma_f64 v[14:15], v[12:13], v[14:15], s[14:15]
	v_fma_f64 v[14:15], v[12:13], v[14:15], s[16:17]
	s_delay_alu instid0(VALU_DEP_1) | instskip(NEXT) | instid1(VALU_DEP_1)
	v_fma_f64 v[14:15], v[12:13], v[14:15], s[18:19]
	v_fma_f64 v[14:15], v[12:13], v[14:15], s[20:21]
	s_delay_alu instid0(VALU_DEP_1) | instskip(NEXT) | instid1(VALU_DEP_1)
	v_fma_f64 v[14:15], v[12:13], v[14:15], s[22:23]
	v_fma_f64 v[14:15], v[12:13], v[14:15], s[24:25]
	s_delay_alu instid0(VALU_DEP_1) | instskip(NEXT) | instid1(VALU_DEP_1)
	v_fma_f64 v[14:15], v[12:13], v[14:15], s[26:27]
	v_fma_f64 v[14:15], v[12:13], v[14:15], s[28:29]
	s_delay_alu instid0(VALU_DEP_1) | instskip(NEXT) | instid1(VALU_DEP_1)
	v_fma_f64 v[14:15], v[12:13], v[14:15], 1.0
	v_fma_f64 v[12:13], v[12:13], v[14:15], 1.0
	s_delay_alu instid0(VALU_DEP_1) | instskip(SKIP_1) | instid1(VALU_DEP_1)
	v_ldexp_f64 v[10:11], v[12:13], v10
	s_wait_alu 0xfffd
	v_cndmask_b32_e32 v11, 0x7ff00000, v11, vcc_lo
	s_and_b32 vcc_lo, s0, vcc_lo
	s_wait_alu 0xfffe
	s_delay_alu instid0(VALU_DEP_2) | instskip(SKIP_2) | instid1(VALU_DEP_1)
	v_cndmask_b32_e32 v8, 0, v10, vcc_lo
	v_cmp_eq_u32_e32 vcc_lo, 1, v0
	v_cndmask_b32_e64 v9, 0, v11, s0
	v_mul_f64_e32 v[8:9], v[8:9], v[3:4]
	s_delay_alu instid0(VALU_DEP_1) | instskip(NEXT) | instid1(VALU_DEP_1)
	v_cvt_f32_f64_e32 v8, v[8:9]
	v_sub_f32_e32 v9, v7, v8
	s_wait_alu 0xfffd
	s_delay_alu instid0(VALU_DEP_1) | instskip(NEXT) | instid1(VALU_DEP_1)
	v_cndmask_b32_e64 v8, -v8, v9, vcc_lo
	v_cvt_f64_f32_e32 v[8:9], v8
	global_store_b64 v[1:2], v[8:9], off offset:69856
	global_load_b64 v[8:9], v[5:6], off offset:139712
	s_wait_loadcnt 0x0
	v_mul_f64_e32 v[10:11], s[2:3], v[8:9]
	v_cmp_nlt_f64_e32 vcc_lo, 0x40900000, v[8:9]
	v_cmp_ngt_f64_e64 s0, 0xc090cc00, v[8:9]
	s_delay_alu instid0(VALU_DEP_3) | instskip(NEXT) | instid1(VALU_DEP_1)
	v_rndne_f64_e32 v[10:11], v[10:11]
	v_fma_f64 v[12:13], v[10:11], s[4:5], v[8:9]
	s_delay_alu instid0(VALU_DEP_1) | instskip(SKIP_1) | instid1(VALU_DEP_2)
	v_fma_f64 v[12:13], v[10:11], s[6:7], v[12:13]
	v_cvt_i32_f64_e32 v10, v[10:11]
	v_fma_f64 v[14:15], v[12:13], s[12:13], s[8:9]
	s_delay_alu instid0(VALU_DEP_1) | instskip(NEXT) | instid1(VALU_DEP_1)
	v_fma_f64 v[14:15], v[12:13], v[14:15], s[14:15]
	v_fma_f64 v[14:15], v[12:13], v[14:15], s[16:17]
	s_delay_alu instid0(VALU_DEP_1) | instskip(NEXT) | instid1(VALU_DEP_1)
	v_fma_f64 v[14:15], v[12:13], v[14:15], s[18:19]
	v_fma_f64 v[14:15], v[12:13], v[14:15], s[20:21]
	s_delay_alu instid0(VALU_DEP_1) | instskip(NEXT) | instid1(VALU_DEP_1)
	v_fma_f64 v[14:15], v[12:13], v[14:15], s[22:23]
	v_fma_f64 v[14:15], v[12:13], v[14:15], s[24:25]
	s_delay_alu instid0(VALU_DEP_1) | instskip(NEXT) | instid1(VALU_DEP_1)
	v_fma_f64 v[14:15], v[12:13], v[14:15], s[26:27]
	v_fma_f64 v[14:15], v[12:13], v[14:15], s[28:29]
	s_delay_alu instid0(VALU_DEP_1) | instskip(NEXT) | instid1(VALU_DEP_1)
	v_fma_f64 v[14:15], v[12:13], v[14:15], 1.0
	v_fma_f64 v[12:13], v[12:13], v[14:15], 1.0
	s_delay_alu instid0(VALU_DEP_1) | instskip(SKIP_1) | instid1(VALU_DEP_1)
	v_ldexp_f64 v[10:11], v[12:13], v10
	s_wait_alu 0xfffd
	v_cndmask_b32_e32 v11, 0x7ff00000, v11, vcc_lo
	s_and_b32 vcc_lo, s0, vcc_lo
	s_wait_alu 0xfffe
	s_delay_alu instid0(VALU_DEP_2) | instskip(SKIP_2) | instid1(VALU_DEP_1)
	v_cndmask_b32_e32 v8, 0, v10, vcc_lo
	v_cmp_eq_u32_e32 vcc_lo, 2, v0
	v_cndmask_b32_e64 v9, 0, v11, s0
	v_mul_f64_e32 v[8:9], v[8:9], v[3:4]
	s_delay_alu instid0(VALU_DEP_1) | instskip(NEXT) | instid1(VALU_DEP_1)
	v_cvt_f32_f64_e32 v8, v[8:9]
	v_sub_f32_e32 v9, v7, v8
	s_wait_alu 0xfffd
	s_delay_alu instid0(VALU_DEP_1) | instskip(NEXT) | instid1(VALU_DEP_1)
	v_cndmask_b32_e64 v8, -v8, v9, vcc_lo
	v_cvt_f64_f32_e32 v[8:9], v8
	global_store_b64 v[1:2], v[8:9], off offset:139712
	;; [unrolled: 46-line block ×78, first 2 shown]
	s_clause 0x1
	global_load_b64 v[8:9], v[5:6], off offset:5518624
	global_load_b64 v[5:6], v[5:6], off offset:5588480
	s_wait_loadcnt 0x1
	v_mul_f64_e32 v[10:11], s[2:3], v[8:9]
	v_cmp_nlt_f64_e32 vcc_lo, 0x40900000, v[8:9]
	v_cmp_ngt_f64_e64 s0, 0xc090cc00, v[8:9]
	s_delay_alu instid0(VALU_DEP_3) | instskip(NEXT) | instid1(VALU_DEP_1)
	v_rndne_f64_e32 v[10:11], v[10:11]
	v_fma_f64 v[12:13], v[10:11], s[4:5], v[8:9]
	s_delay_alu instid0(VALU_DEP_1) | instskip(SKIP_1) | instid1(VALU_DEP_2)
	v_fma_f64 v[12:13], v[10:11], s[6:7], v[12:13]
	v_cvt_i32_f64_e32 v10, v[10:11]
	v_fma_f64 v[14:15], v[12:13], s[12:13], s[8:9]
	s_delay_alu instid0(VALU_DEP_1) | instskip(NEXT) | instid1(VALU_DEP_1)
	v_fma_f64 v[14:15], v[12:13], v[14:15], s[14:15]
	v_fma_f64 v[14:15], v[12:13], v[14:15], s[16:17]
	s_delay_alu instid0(VALU_DEP_1) | instskip(NEXT) | instid1(VALU_DEP_1)
	v_fma_f64 v[14:15], v[12:13], v[14:15], s[18:19]
	v_fma_f64 v[14:15], v[12:13], v[14:15], s[20:21]
	s_delay_alu instid0(VALU_DEP_1) | instskip(NEXT) | instid1(VALU_DEP_1)
	v_fma_f64 v[14:15], v[12:13], v[14:15], s[22:23]
	v_fma_f64 v[14:15], v[12:13], v[14:15], s[24:25]
	s_delay_alu instid0(VALU_DEP_1) | instskip(NEXT) | instid1(VALU_DEP_1)
	v_fma_f64 v[14:15], v[12:13], v[14:15], s[26:27]
	v_fma_f64 v[14:15], v[12:13], v[14:15], s[28:29]
	s_delay_alu instid0(VALU_DEP_1) | instskip(NEXT) | instid1(VALU_DEP_1)
	v_fma_f64 v[14:15], v[12:13], v[14:15], 1.0
	v_fma_f64 v[12:13], v[12:13], v[14:15], 1.0
	s_delay_alu instid0(VALU_DEP_1) | instskip(SKIP_1) | instid1(VALU_DEP_1)
	v_ldexp_f64 v[10:11], v[12:13], v10
	s_wait_alu 0xfffd
	v_cndmask_b32_e32 v11, 0x7ff00000, v11, vcc_lo
	s_and_b32 vcc_lo, s0, vcc_lo
	s_wait_alu 0xfffe
	s_delay_alu instid0(VALU_DEP_2) | instskip(SKIP_4) | instid1(VALU_DEP_2)
	v_cndmask_b32_e32 v8, 0, v10, vcc_lo
	v_cmp_eq_u32_e32 vcc_lo, 0x4f, v0
	v_cndmask_b32_e64 v9, 0, v11, s0
	s_wait_loadcnt 0x0
	v_cmp_ngt_f64_e64 s0, 0xc090cc00, v[5:6]
	v_mul_f64_e32 v[8:9], v[8:9], v[3:4]
	s_delay_alu instid0(VALU_DEP_1) | instskip(NEXT) | instid1(VALU_DEP_1)
	v_cvt_f32_f64_e32 v8, v[8:9]
	v_sub_f32_e32 v9, v7, v8
	s_wait_alu 0xfffd
	s_delay_alu instid0(VALU_DEP_1) | instskip(SKIP_1) | instid1(VALU_DEP_2)
	v_cndmask_b32_e64 v8, -v8, v9, vcc_lo
	v_cmp_nlt_f64_e32 vcc_lo, 0x40900000, v[5:6]
	v_cvt_f64_f32_e32 v[8:9], v8
	global_store_b64 v[1:2], v[8:9], off offset:5518624
	v_mul_f64_e32 v[8:9], s[2:3], v[5:6]
	s_delay_alu instid0(VALU_DEP_1) | instskip(NEXT) | instid1(VALU_DEP_1)
	v_rndne_f64_e32 v[8:9], v[8:9]
	v_fma_f64 v[10:11], v[8:9], s[4:5], v[5:6]
	s_delay_alu instid0(VALU_DEP_1) | instskip(SKIP_1) | instid1(VALU_DEP_2)
	v_fma_f64 v[10:11], v[8:9], s[6:7], v[10:11]
	v_cvt_i32_f64_e32 v8, v[8:9]
	v_fma_f64 v[12:13], v[10:11], s[12:13], s[8:9]
	s_delay_alu instid0(VALU_DEP_1) | instskip(NEXT) | instid1(VALU_DEP_1)
	v_fma_f64 v[12:13], v[10:11], v[12:13], s[14:15]
	v_fma_f64 v[12:13], v[10:11], v[12:13], s[16:17]
	s_delay_alu instid0(VALU_DEP_1) | instskip(NEXT) | instid1(VALU_DEP_1)
	v_fma_f64 v[12:13], v[10:11], v[12:13], s[18:19]
	;; [unrolled: 3-line block ×4, first 2 shown]
	v_fma_f64 v[12:13], v[10:11], v[12:13], s[28:29]
	s_delay_alu instid0(VALU_DEP_1) | instskip(NEXT) | instid1(VALU_DEP_1)
	v_fma_f64 v[12:13], v[10:11], v[12:13], 1.0
	v_fma_f64 v[10:11], v[10:11], v[12:13], 1.0
	s_delay_alu instid0(VALU_DEP_1) | instskip(SKIP_1) | instid1(VALU_DEP_1)
	v_ldexp_f64 v[8:9], v[10:11], v8
	s_wait_alu 0xfffd
	v_cndmask_b32_e32 v9, 0x7ff00000, v9, vcc_lo
	s_and_b32 vcc_lo, s0, vcc_lo
	s_wait_alu 0xfffe
	s_delay_alu instid0(VALU_DEP_2) | instskip(SKIP_2) | instid1(VALU_DEP_1)
	v_cndmask_b32_e32 v5, 0, v8, vcc_lo
	v_cmp_eq_u32_e32 vcc_lo, 0x50, v0
	v_cndmask_b32_e64 v6, 0, v9, s0
	v_mul_f64_e32 v[3:4], v[5:6], v[3:4]
	s_delay_alu instid0(VALU_DEP_1) | instskip(NEXT) | instid1(VALU_DEP_1)
	v_cvt_f32_f64_e32 v3, v[3:4]
	v_sub_f32_e32 v0, v7, v3
	s_wait_alu 0xfffd
	s_delay_alu instid0(VALU_DEP_1) | instskip(NEXT) | instid1(VALU_DEP_1)
	v_cndmask_b32_e64 v0, -v3, v0, vcc_lo
	v_cvt_f64_f32_e32 v[3:4], v0
	global_store_b64 v[1:2], v[3:4], off offset:5588480
.LBB2_4:
	s_endpgm
	.section	.rodata,"a",@progbits
	.p2align	6, 0x0
	.amdhsa_kernel _Z8loss_bwdIddEvPKT_PKT0_S5_PKlS2_S7_PS3_
		.amdhsa_group_segment_fixed_size 0
		.amdhsa_private_segment_fixed_size 0
		.amdhsa_kernarg_size 56
		.amdhsa_user_sgpr_count 2
		.amdhsa_user_sgpr_dispatch_ptr 0
		.amdhsa_user_sgpr_queue_ptr 0
		.amdhsa_user_sgpr_kernarg_segment_ptr 1
		.amdhsa_user_sgpr_dispatch_id 0
		.amdhsa_user_sgpr_private_segment_size 0
		.amdhsa_wavefront_size32 1
		.amdhsa_uses_dynamic_stack 0
		.amdhsa_enable_private_segment 0
		.amdhsa_system_sgpr_workgroup_id_x 1
		.amdhsa_system_sgpr_workgroup_id_y 1
		.amdhsa_system_sgpr_workgroup_id_z 0
		.amdhsa_system_sgpr_workgroup_info 0
		.amdhsa_system_vgpr_workitem_id 0
		.amdhsa_next_free_vgpr 16
		.amdhsa_next_free_sgpr 30
		.amdhsa_reserve_vcc 1
		.amdhsa_float_round_mode_32 0
		.amdhsa_float_round_mode_16_64 0
		.amdhsa_float_denorm_mode_32 3
		.amdhsa_float_denorm_mode_16_64 3
		.amdhsa_fp16_overflow 0
		.amdhsa_workgroup_processor_mode 1
		.amdhsa_memory_ordered 1
		.amdhsa_forward_progress 1
		.amdhsa_inst_pref_size 183
		.amdhsa_round_robin_scheduling 0
		.amdhsa_exception_fp_ieee_invalid_op 0
		.amdhsa_exception_fp_denorm_src 0
		.amdhsa_exception_fp_ieee_div_zero 0
		.amdhsa_exception_fp_ieee_overflow 0
		.amdhsa_exception_fp_ieee_underflow 0
		.amdhsa_exception_fp_ieee_inexact 0
		.amdhsa_exception_int_div_zero 0
	.end_amdhsa_kernel
	.section	.text._Z8loss_bwdIddEvPKT_PKT0_S5_PKlS2_S7_PS3_,"axG",@progbits,_Z8loss_bwdIddEvPKT_PKT0_S5_PKlS2_S7_PS3_,comdat
.Lfunc_end2:
	.size	_Z8loss_bwdIddEvPKT_PKT0_S5_PKlS2_S7_PS3_, .Lfunc_end2-_Z8loss_bwdIddEvPKT_PKT0_S5_PKlS2_S7_PS3_
                                        ; -- End function
	.set _Z8loss_bwdIddEvPKT_PKT0_S5_PKlS2_S7_PS3_.num_vgpr, 16
	.set _Z8loss_bwdIddEvPKT_PKT0_S5_PKlS2_S7_PS3_.num_agpr, 0
	.set _Z8loss_bwdIddEvPKT_PKT0_S5_PKlS2_S7_PS3_.numbered_sgpr, 30
	.set _Z8loss_bwdIddEvPKT_PKT0_S5_PKlS2_S7_PS3_.num_named_barrier, 0
	.set _Z8loss_bwdIddEvPKT_PKT0_S5_PKlS2_S7_PS3_.private_seg_size, 0
	.set _Z8loss_bwdIddEvPKT_PKT0_S5_PKlS2_S7_PS3_.uses_vcc, 1
	.set _Z8loss_bwdIddEvPKT_PKT0_S5_PKlS2_S7_PS3_.uses_flat_scratch, 0
	.set _Z8loss_bwdIddEvPKT_PKT0_S5_PKlS2_S7_PS3_.has_dyn_sized_stack, 0
	.set _Z8loss_bwdIddEvPKT_PKT0_S5_PKlS2_S7_PS3_.has_recursion, 0
	.set _Z8loss_bwdIddEvPKT_PKT0_S5_PKlS2_S7_PS3_.has_indirect_call, 0
	.section	.AMDGPU.csdata,"",@progbits
; Kernel info:
; codeLenInByte = 23396
; TotalNumSgprs: 32
; NumVgprs: 16
; ScratchSize: 0
; MemoryBound: 0
; FloatMode: 240
; IeeeMode: 1
; LDSByteSize: 0 bytes/workgroup (compile time only)
; SGPRBlocks: 0
; VGPRBlocks: 1
; NumSGPRsForWavesPerEU: 32
; NumVGPRsForWavesPerEU: 16
; Occupancy: 16
; WaveLimiterHint : 1
; COMPUTE_PGM_RSRC2:SCRATCH_EN: 0
; COMPUTE_PGM_RSRC2:USER_SGPR: 2
; COMPUTE_PGM_RSRC2:TRAP_HANDLER: 0
; COMPUTE_PGM_RSRC2:TGID_X_EN: 1
; COMPUTE_PGM_RSRC2:TGID_Y_EN: 1
; COMPUTE_PGM_RSRC2:TGID_Z_EN: 0
; COMPUTE_PGM_RSRC2:TIDIG_COMP_CNT: 0
	.text
	.p2alignl 7, 3214868480
	.fill 96, 4, 3214868480
	.section	.AMDGPU.gpr_maximums,"",@progbits
	.set amdgpu.max_num_vgpr, 0
	.set amdgpu.max_num_agpr, 0
	.set amdgpu.max_num_sgpr, 0
	.text
	.type	__hip_cuid_fb88e20ee2775efe,@object ; @__hip_cuid_fb88e20ee2775efe
	.section	.bss,"aw",@nobits
	.globl	__hip_cuid_fb88e20ee2775efe
__hip_cuid_fb88e20ee2775efe:
	.byte	0                               ; 0x0
	.size	__hip_cuid_fb88e20ee2775efe, 1

	.ident	"AMD clang version 22.0.0git (https://github.com/RadeonOpenCompute/llvm-project roc-7.2.4 26084 f58b06dce1f9c15707c5f808fd002e18c2accf7e)"
	.section	".note.GNU-stack","",@progbits
	.addrsig
	.addrsig_sym __hip_cuid_fb88e20ee2775efe
	.amdgpu_metadata
---
amdhsa.kernels:
  - .args:
      - .actual_access:  read_only
        .address_space:  global
        .offset:         0
        .size:           8
        .value_kind:     global_buffer
      - .actual_access:  read_only
        .address_space:  global
        .offset:         8
        .size:           8
        .value_kind:     global_buffer
      - .actual_access:  read_only
        .address_space:  global
        .offset:         16
        .size:           8
        .value_kind:     global_buffer
      - .actual_access:  read_only
        .address_space:  global
        .offset:         24
        .size:           8
        .value_kind:     global_buffer
      - .actual_access:  read_only
        .address_space:  global
        .offset:         32
        .size:           8
        .value_kind:     global_buffer
      - .actual_access:  read_only
        .address_space:  global
        .offset:         40
        .size:           8
        .value_kind:     global_buffer
      - .actual_access:  write_only
        .address_space:  global
        .offset:         48
        .size:           8
        .value_kind:     global_buffer
    .group_segment_fixed_size: 0
    .kernarg_segment_align: 8
    .kernarg_segment_size: 56
    .language:       OpenCL C
    .language_version:
      - 2
      - 0
    .max_flat_workgroup_size: 1024
    .name:           _Z8loss_bwdI6__halfS0_EvPKT_PKT0_S6_PKlS3_S8_PS4_
    .private_segment_fixed_size: 0
    .sgpr_count:     18
    .sgpr_spill_count: 0
    .symbol:         _Z8loss_bwdI6__halfS0_EvPKT_PKT0_S6_PKlS3_S8_PS4_.kd
    .uniform_work_group_size: 1
    .uses_dynamic_stack: false
    .vgpr_count:     91
    .vgpr_spill_count: 0
    .wavefront_size: 32
    .workgroup_processor_mode: 1
  - .args:
      - .actual_access:  read_only
        .address_space:  global
        .offset:         0
        .size:           8
        .value_kind:     global_buffer
      - .actual_access:  read_only
        .address_space:  global
        .offset:         8
        .size:           8
        .value_kind:     global_buffer
      - .actual_access:  read_only
        .address_space:  global
        .offset:         16
        .size:           8
        .value_kind:     global_buffer
      - .actual_access:  read_only
        .address_space:  global
        .offset:         24
        .size:           8
        .value_kind:     global_buffer
      - .actual_access:  read_only
        .address_space:  global
        .offset:         32
        .size:           8
        .value_kind:     global_buffer
      - .actual_access:  read_only
        .address_space:  global
        .offset:         40
        .size:           8
        .value_kind:     global_buffer
      - .actual_access:  write_only
        .address_space:  global
        .offset:         48
        .size:           8
        .value_kind:     global_buffer
    .group_segment_fixed_size: 0
    .kernarg_segment_align: 8
    .kernarg_segment_size: 56
    .language:       OpenCL C
    .language_version:
      - 2
      - 0
    .max_flat_workgroup_size: 1024
    .name:           _Z8loss_bwdIffEvPKT_PKT0_S5_PKlS2_S7_PS3_
    .private_segment_fixed_size: 0
    .sgpr_count:     18
    .sgpr_spill_count: 0
    .symbol:         _Z8loss_bwdIffEvPKT_PKT0_S5_PKlS2_S7_PS3_.kd
    .uniform_work_group_size: 1
    .uses_dynamic_stack: false
    .vgpr_count:     91
    .vgpr_spill_count: 0
    .wavefront_size: 32
    .workgroup_processor_mode: 1
  - .args:
      - .actual_access:  read_only
        .address_space:  global
        .offset:         0
        .size:           8
        .value_kind:     global_buffer
      - .actual_access:  read_only
        .address_space:  global
        .offset:         8
        .size:           8
        .value_kind:     global_buffer
      - .actual_access:  read_only
        .address_space:  global
        .offset:         16
        .size:           8
        .value_kind:     global_buffer
      - .actual_access:  read_only
        .address_space:  global
        .offset:         24
        .size:           8
        .value_kind:     global_buffer
      - .actual_access:  read_only
        .address_space:  global
        .offset:         32
        .size:           8
        .value_kind:     global_buffer
      - .actual_access:  read_only
        .address_space:  global
        .offset:         40
        .size:           8
        .value_kind:     global_buffer
      - .actual_access:  write_only
        .address_space:  global
        .offset:         48
        .size:           8
        .value_kind:     global_buffer
    .group_segment_fixed_size: 0
    .kernarg_segment_align: 8
    .kernarg_segment_size: 56
    .language:       OpenCL C
    .language_version:
      - 2
      - 0
    .max_flat_workgroup_size: 1024
    .name:           _Z8loss_bwdIddEvPKT_PKT0_S5_PKlS2_S7_PS3_
    .private_segment_fixed_size: 0
    .sgpr_count:     32
    .sgpr_spill_count: 0
    .symbol:         _Z8loss_bwdIddEvPKT_PKT0_S5_PKlS2_S7_PS3_.kd
    .uniform_work_group_size: 1
    .uses_dynamic_stack: false
    .vgpr_count:     16
    .vgpr_spill_count: 0
    .wavefront_size: 32
    .workgroup_processor_mode: 1
amdhsa.target:   amdgcn-amd-amdhsa--gfx1201
amdhsa.version:
  - 1
  - 2
...

	.end_amdgpu_metadata
